;; amdgpu-corpus repo=ROCm/rocFFT kind=compiled arch=gfx1201 opt=O3
	.text
	.amdgcn_target "amdgcn-amd-amdhsa--gfx1201"
	.amdhsa_code_object_version 6
	.protected	bluestein_single_back_len182_dim1_half_op_CI_CI ; -- Begin function bluestein_single_back_len182_dim1_half_op_CI_CI
	.globl	bluestein_single_back_len182_dim1_half_op_CI_CI
	.p2align	8
	.type	bluestein_single_back_len182_dim1_half_op_CI_CI,@function
bluestein_single_back_len182_dim1_half_op_CI_CI: ; @bluestein_single_back_len182_dim1_half_op_CI_CI
; %bb.0:
	s_load_b128 s[12:15], s[0:1], 0x28
	v_mul_u32_u24_e32 v1, 0x13b2, v0
	v_mov_b32_e32 v9, 0
	s_mov_b32 s2, exec_lo
	s_delay_alu instid0(VALU_DEP_2) | instskip(NEXT) | instid1(VALU_DEP_1)
	v_lshrrev_b32_e32 v2, 16, v1
	v_lshl_add_u32 v8, ttmp9, 2, v2
	s_wait_kmcnt 0x0
	s_delay_alu instid0(VALU_DEP_1)
	v_cmpx_gt_u64_e64 s[12:13], v[8:9]
	s_cbranch_execz .LBB0_15
; %bb.1:
	s_clause 0x1
	s_load_b128 s[4:7], s[0:1], 0x18
	s_load_b64 s[12:13], s[0:1], 0x0
	v_mul_lo_u16 v1, v2, 13
	s_delay_alu instid0(VALU_DEP_1) | instskip(NEXT) | instid1(VALU_DEP_1)
	v_sub_nc_u16 v16, v0, v1
	v_and_b32_e32 v58, 0xffff, v16
	s_wait_kmcnt 0x0
	s_load_b128 s[8:11], s[4:5], 0x0
	s_wait_kmcnt 0x0
	v_mad_co_u64_u32 v[0:1], null, s10, v8, 0
	v_mad_co_u64_u32 v[3:4], null, s8, v58, 0
	s_mul_u64 s[2:3], s[8:9], 56
	s_delay_alu instid0(VALU_DEP_2) | instskip(NEXT) | instid1(VALU_DEP_2)
	v_mad_co_u64_u32 v[10:11], null, s11, v8, v[1:2]
	v_mov_b32_e32 v1, v4
	v_or_b32_e32 v43, 0x70, v58
	s_load_b64 s[10:11], s[0:1], 0x38
	s_delay_alu instid0(VALU_DEP_1) | instskip(NEXT) | instid1(VALU_DEP_1)
	v_mad_co_u64_u32 v[5:6], null, s8, v43, 0
	v_dual_mov_b32 v4, v6 :: v_dual_lshlrev_b32 v9, 2, v58
	v_mad_co_u64_u32 v[6:7], null, s9, v58, v[1:2]
	v_dual_mov_b32 v1, v10 :: v_dual_and_b32 v2, 3, v2
	s_delay_alu instid0(VALU_DEP_3)
	v_mad_co_u64_u32 v[10:11], null, s9, v43, v[4:5]
	s_clause 0xc
	global_load_b32 v64, v9, s[12:13]
	global_load_b32 v63, v9, s[12:13] offset:56
	global_load_b32 v61, v9, s[12:13] offset:112
	;; [unrolled: 1-line block ×12, first 2 shown]
	v_mov_b32_e32 v4, v6
	v_lshlrev_b64_e32 v[0:1], 2, v[0:1]
	v_mul_u32_u24_e32 v98, 0xb6, v2
	v_mov_b32_e32 v6, v10
	s_delay_alu instid0(VALU_DEP_4) | instskip(NEXT) | instid1(VALU_DEP_3)
	v_lshlrev_b64_e32 v[3:4], 2, v[3:4]
	v_lshlrev_b32_e32 v37, 2, v98
	v_add_co_u32 v0, vcc_lo, s14, v0
	v_add_co_ci_u32_e32 v1, vcc_lo, s15, v1, vcc_lo
	v_lshlrev_b64_e32 v[5:6], 2, v[5:6]
	s_delay_alu instid0(VALU_DEP_3) | instskip(SKIP_1) | instid1(VALU_DEP_3)
	v_add_co_u32 v3, vcc_lo, v0, v3
	s_wait_alu 0xfffd
	v_add_co_ci_u32_e32 v4, vcc_lo, v1, v4, vcc_lo
	v_add_nc_u32_e32 v41, v37, v9
	s_delay_alu instid0(VALU_DEP_3) | instskip(SKIP_1) | instid1(VALU_DEP_3)
	v_add_co_u32 v10, vcc_lo, v3, s2
	s_wait_alu 0xfffd
	v_add_co_ci_u32_e32 v11, vcc_lo, s3, v4, vcc_lo
	v_add_co_u32 v5, vcc_lo, v0, v5
	s_wait_alu 0xfffd
	v_add_co_ci_u32_e32 v6, vcc_lo, v1, v6, vcc_lo
	;; [unrolled: 3-line block ×3, first 2 shown]
	s_clause 0x3
	global_load_b32 v7, v[3:4], off
	global_load_b32 v17, v[5:6], off
	global_load_b32 v18, v[10:11], off
	global_load_b32 v19, v[12:13], off
	v_add_co_u32 v3, vcc_lo, v12, s2
	s_wait_alu 0xfffd
	v_add_co_ci_u32_e32 v4, vcc_lo, s3, v13, vcc_lo
	s_delay_alu instid0(VALU_DEP_2)
	v_add_co_u32 v5, vcc_lo, v3, s2
	global_load_b32 v20, v[3:4], off
	s_wait_alu 0xfffd
	v_add_co_ci_u32_e32 v6, vcc_lo, s3, v4, vcc_lo
	v_add_co_u32 v10, vcc_lo, v5, s2
	s_wait_alu 0xfffd
	s_delay_alu instid0(VALU_DEP_2) | instskip(NEXT) | instid1(VALU_DEP_2)
	v_add_co_ci_u32_e32 v11, vcc_lo, s3, v6, vcc_lo
	v_add_co_u32 v12, vcc_lo, v10, s2
	global_load_b32 v21, v[5:6], off
	global_load_b32 v22, v[10:11], off
	s_wait_alu 0xfffd
	v_add_co_ci_u32_e32 v13, vcc_lo, s3, v11, vcc_lo
	v_add_co_u32 v14, vcc_lo, v12, s2
	s_wait_alu 0xfffd
	s_delay_alu instid0(VALU_DEP_2) | instskip(SKIP_3) | instid1(VALU_DEP_1)
	v_add_co_ci_u32_e32 v15, vcc_lo, s3, v13, vcc_lo
	global_load_b32 v12, v[12:13], off
	global_load_b32 v13, v[14:15], off
	v_mad_co_u64_u32 v[3:4], null, 0x70, s8, v[14:15]
	v_mad_co_u64_u32 v[4:5], null, 0x70, s9, v[4:5]
	s_delay_alu instid0(VALU_DEP_2) | instskip(SKIP_1) | instid1(VALU_DEP_2)
	v_add_co_u32 v5, vcc_lo, v3, s2
	s_wait_alu 0xfffd
	v_add_co_ci_u32_e32 v6, vcc_lo, s3, v4, vcc_lo
	global_load_b32 v14, v[3:4], off
	v_add_co_u32 v3, vcc_lo, v5, s2
	s_wait_alu 0xfffd
	v_add_co_ci_u32_e32 v4, vcc_lo, s3, v6, vcc_lo
	s_delay_alu instid0(VALU_DEP_2) | instskip(SKIP_1) | instid1(VALU_DEP_2)
	v_add_co_u32 v10, vcc_lo, v3, s2
	s_wait_alu 0xfffd
	v_add_co_ci_u32_e32 v11, vcc_lo, s3, v4, vcc_lo
	global_load_b32 v5, v[5:6], off
	global_load_b32 v3, v[3:4], off
	;; [unrolled: 1-line block ×3, first 2 shown]
	s_load_b128 s[4:7], s[6:7], 0x0
	v_cmp_eq_u16_e32 vcc_lo, 0, v16
	s_wait_loadcnt 0x19
	v_lshrrev_b32_e32 v66, 16, v64
	s_wait_loadcnt 0x18
	v_lshrrev_b32_e32 v65, 16, v63
	;; [unrolled: 2-line block ×5, first 2 shown]
	v_lshrrev_b32_e32 v57, 16, v56
	v_lshrrev_b32_e32 v55, 16, v54
	;; [unrolled: 1-line block ×4, first 2 shown]
	s_wait_loadcnt 0x10
	v_lshrrev_b32_e32 v47, 16, v46
	s_wait_loadcnt 0xf
	v_lshrrev_b32_e32 v45, 16, v44
	;; [unrolled: 2-line block ×5, first 2 shown]
	v_mul_f16_e32 v6, v66, v7
	s_wait_loadcnt 0xb
	v_lshrrev_b32_e32 v10, 16, v17
	v_mul_f16_e32 v11, v50, v17
	s_wait_loadcnt 0xa
	v_mul_f16_e32 v23, v65, v18
	v_mul_f16_e32 v15, v66, v2
	v_fma_f16 v2, v64, v2, -v6
	v_lshrrev_b32_e32 v6, 16, v18
	v_mul_f16_e32 v24, v50, v10
	v_fma_f16 v10, v48, v10, -v11
	v_fmac_f16_e32 v15, v64, v7
	s_wait_loadcnt 0x9
	v_lshrrev_b32_e32 v11, 16, v19
	v_mul_f16_e32 v7, v65, v6
	v_fma_f16 v6, v63, v6, -v23
	v_mul_f16_e32 v23, v62, v19
	v_fmac_f16_e32 v24, v48, v17
	v_pack_b32_f16 v2, v15, v2
	v_fmac_f16_e32 v7, v63, v18
	v_mul_f16_e32 v15, v62, v11
	s_wait_loadcnt 0x8
	v_lshrrev_b32_e32 v17, 16, v20
	v_mul_f16_e32 v18, v60, v20
	v_fma_f16 v11, v61, v11, -v23
	v_pack_b32_f16 v6, v7, v6
	v_fmac_f16_e32 v15, v61, v19
	v_mul_f16_e32 v7, v60, v17
	v_fma_f16 v17, v59, v17, -v18
	s_wait_loadcnt 0x7
	v_lshrrev_b32_e32 v18, 16, v21
	v_mul_f16_e32 v19, v57, v21
	ds_store_2addr_b32 v41, v2, v6 offset1:14
	v_pack_b32_f16 v2, v15, v11
	v_fmac_f16_e32 v7, v59, v20
	v_mul_f16_e32 v6, v57, v18
	s_wait_loadcnt 0x6
	v_lshrrev_b32_e32 v11, 16, v22
	v_mul_f16_e32 v15, v55, v22
	v_fma_f16 v18, v56, v18, -v19
	v_pack_b32_f16 v7, v7, v17
	v_fmac_f16_e32 v6, v56, v21
	v_mul_f16_e32 v17, v55, v11
	v_fma_f16 v11, v54, v11, -v15
	s_wait_loadcnt 0x5
	v_lshrrev_b32_e32 v15, 16, v12
	v_mul_f16_e32 v19, v53, v12
	ds_store_2addr_b32 v41, v2, v7 offset0:28 offset1:42
	v_pack_b32_f16 v2, v6, v18
	s_wait_loadcnt 0x4
	v_lshrrev_b32_e32 v6, 16, v13
	v_fmac_f16_e32 v17, v54, v22
	v_mul_f16_e32 v7, v53, v15
	v_fma_f16 v15, v52, v15, -v19
	v_mul_f16_e32 v18, v51, v13
	v_mul_f16_e32 v19, v51, v6
	v_pack_b32_f16 v11, v17, v11
	v_fmac_f16_e32 v7, v52, v12
	s_wait_loadcnt 0x3
	v_lshrrev_b32_e32 v12, 16, v14
	v_fma_f16 v6, v49, v6, -v18
	v_fmac_f16_e32 v19, v49, v13
	v_mul_f16_e32 v13, v47, v14
	ds_store_2addr_b32 v41, v2, v11 offset0:56 offset1:70
	v_pack_b32_f16 v2, v7, v15
	v_mul_f16_e32 v7, v47, v12
	v_pack_b32_f16 v6, v19, v6
	v_fma_f16 v11, v46, v12, -v13
	s_wait_loadcnt 0x2
	v_lshrrev_b32_e32 v12, 16, v5
	v_mul_f16_e32 v13, v45, v5
	v_fmac_f16_e32 v7, v46, v14
	s_wait_loadcnt 0x1
	v_lshrrev_b32_e32 v14, 16, v3
	s_wait_loadcnt 0x0
	v_lshrrev_b32_e32 v15, 16, v4
	v_mul_f16_e32 v17, v45, v12
	v_fma_f16 v12, v44, v12, -v13
	v_mul_f16_e32 v13, v42, v3
	v_mul_f16_e32 v18, v42, v14
	;; [unrolled: 1-line block ×4, first 2 shown]
	v_fmac_f16_e32 v17, v44, v5
	v_fma_f16 v5, v39, v14, -v13
	v_fmac_f16_e32 v18, v39, v3
	v_fmac_f16_e32 v19, v38, v4
	v_fma_f16 v3, v38, v15, -v20
	v_pack_b32_f16 v10, v24, v10
	v_pack_b32_f16 v4, v7, v11
	;; [unrolled: 1-line block ×5, first 2 shown]
	ds_store_2addr_b32 v41, v2, v6 offset0:84 offset1:98
	ds_store_2addr_b32 v41, v10, v4 offset0:112 offset1:126
	;; [unrolled: 1-line block ×3, first 2 shown]
	ds_store_b32 v41, v3 offset:672
	s_and_saveexec_b32 s2, vcc_lo
	s_cbranch_execz .LBB0_3
; %bb.2:
	v_mad_co_u64_u32 v[2:3], null, s8, 52, v[0:1]
	v_mad_co_u64_u32 v[4:5], null, 0x6c, s8, v[0:1]
	;; [unrolled: 1-line block ×4, first 2 shown]
	v_mov_b32_e32 v28, 0
	v_mad_co_u64_u32 v[22:23], null, 0x1bc, s8, v[0:1]
	v_mad_co_u64_u32 v[12:13], null, s9, 52, v[3:4]
	v_mov_b32_e32 v3, v7
	v_mad_co_u64_u32 v[13:14], null, 0x114, s8, v[0:1]
	v_mad_co_u64_u32 v[15:16], null, 0x6c, s9, v[5:6]
	s_delay_alu instid0(VALU_DEP_3) | instskip(SKIP_1) | instid1(VALU_DEP_4)
	v_mad_co_u64_u32 v[16:17], null, 0xa4, s9, v[3:4]
	v_mad_co_u64_u32 v[17:18], null, 0x14c, s8, v[0:1]
	v_mov_b32_e32 v5, v14
	v_mov_b32_e32 v7, v11
	v_mad_co_u64_u32 v[24:25], null, 0x1f4, s8, v[0:1]
	s_delay_alu instid0(VALU_DEP_3)
	v_mad_co_u64_u32 v[19:20], null, 0x114, s9, v[5:6]
	v_mad_co_u64_u32 v[20:21], null, 0x184, s8, v[0:1]
	v_mov_b32_e32 v3, v12
	v_mad_co_u64_u32 v[11:12], null, 0xdc, s9, v[7:8]
	v_mov_b32_e32 v12, v18
	v_dual_mov_b32 v14, v19 :: v_dual_mov_b32 v5, v15
	v_mov_b32_e32 v15, v21
	v_mov_b32_e32 v7, v16
	s_delay_alu instid0(VALU_DEP_4) | instskip(SKIP_1) | instid1(VALU_DEP_4)
	v_mad_co_u64_u32 v[18:19], null, 0x14c, s9, v[12:13]
	v_mov_b32_e32 v12, v23
	v_mad_co_u64_u32 v[15:16], null, 0x184, s9, v[15:16]
	s_delay_alu instid0(VALU_DEP_2)
	v_mad_co_u64_u32 v[26:27], null, 0x1bc, s9, v[12:13]
	s_clause 0x4
	global_load_b32 v16, v[2:3], off
	global_load_b32 v19, v[4:5], off
	global_load_b32 v27, v[6:7], off
	global_load_b32 v29, v[10:11], off
	global_load_b32 v14, v[13:14], off
	v_mov_b32_e32 v2, v25
	v_mad_co_u64_u32 v[5:6], null, 0x264, s8, v[0:1]
	v_mad_co_u64_u32 v[10:11], null, 0x29c, s8, v[0:1]
	s_delay_alu instid0(VALU_DEP_3) | instskip(SKIP_3) | instid1(VALU_DEP_3)
	v_mad_co_u64_u32 v[2:3], null, 0x1f4, s9, v[2:3]
	v_mad_co_u64_u32 v[3:4], null, 0x22c, s8, v[0:1]
	v_mov_b32_e32 v21, v15
	v_mad_co_u64_u32 v[0:1], null, 0x2d4, s8, v[0:1]
	v_dual_mov_b32 v25, v2 :: v_dual_mov_b32 v2, v4
	v_mov_b32_e32 v4, v6
	s_delay_alu instid0(VALU_DEP_2) | instskip(SKIP_1) | instid1(VALU_DEP_3)
	v_mad_co_u64_u32 v[6:7], null, 0x22c, s9, v[2:3]
	v_mov_b32_e32 v2, v11
	v_mad_co_u64_u32 v[11:12], null, 0x264, s9, v[4:5]
	v_mov_b32_e32 v23, v26
	s_clause 0x7
	global_load_b32 v15, v28, s[12:13] offset:52
	global_load_b32 v26, v28, s[12:13] offset:108
	;; [unrolled: 1-line block ×8, first 2 shown]
	v_mad_co_u64_u32 v[12:13], null, 0x29c, s9, v[2:3]
	v_mov_b32_e32 v4, v6
	v_mad_co_u64_u32 v[1:2], null, 0x2d4, s9, v[1:2]
	v_mov_b32_e32 v6, v11
	s_clause 0x4
	global_load_b32 v36, v28, s[12:13] offset:500
	global_load_b32 v67, v28, s[12:13] offset:556
	;; [unrolled: 1-line block ×5, first 2 shown]
	s_clause 0x2
	global_load_b32 v7, v[17:18], off
	global_load_b32 v2, v[20:21], off
	;; [unrolled: 1-line block ×3, first 2 shown]
	v_mov_b32_e32 v11, v12
	s_clause 0x4
	global_load_b32 v17, v[24:25], off
	global_load_b32 v3, v[3:4], off
	;; [unrolled: 1-line block ×5, first 2 shown]
	s_wait_loadcnt 0x19
	v_lshrrev_b32_e32 v71, 16, v16
	s_wait_loadcnt 0x18
	v_lshrrev_b32_e32 v73, 16, v19
	;; [unrolled: 2-line block ×13, first 2 shown]
	v_mul_f16_e32 v72, v1, v16
	v_mul_f16_e32 v74, v6, v19
	s_wait_loadcnt 0xc
	v_lshrrev_b32_e32 v22, 16, v36
	s_wait_loadcnt 0xb
	v_lshrrev_b32_e32 v23, 16, v67
	;; [unrolled: 2-line block ×9, first 2 shown]
	v_lshrrev_b32_e32 v87, 16, v17
	s_wait_loadcnt 0x2
	v_lshrrev_b32_e32 v91, 16, v4
	s_wait_loadcnt 0x1
	;; [unrolled: 2-line block ×3, first 2 shown]
	v_lshrrev_b32_e32 v95, 16, v0
	v_mul_f16_e32 v1, v1, v71
	v_mul_f16_e32 v6, v6, v73
	;; [unrolled: 1-line block ×21, first 2 shown]
	v_fma_f16 v71, v15, v71, -v72
	v_fma_f16 v72, v26, v73, -v74
	v_mul_f16_e32 v24, v24, v91
	v_mul_f16_e32 v25, v25, v93
	;; [unrolled: 1-line block ×3, first 2 shown]
	v_fmac_f16_e32 v1, v15, v16
	v_fmac_f16_e32 v6, v26, v19
	v_fma_f16 v73, v30, v75, -v76
	v_fma_f16 v74, v31, v77, -v78
	v_fmac_f16_e32 v10, v30, v27
	v_fmac_f16_e32 v11, v31, v29
	v_fma_f16 v75, v32, v79, -v80
	v_fma_f16 v76, v33, v81, -v82
	v_fmac_f16_e32 v12, v32, v14
	v_fmac_f16_e32 v18, v33, v7
	v_fma_f16 v77, v34, v83, -v84
	v_fma_f16 v78, v35, v85, -v86
	v_fmac_f16_e32 v20, v34, v2
	v_fmac_f16_e32 v21, v35, v13
	v_fma_f16 v79, v36, v87, -v88
	v_fma_f16 v80, v67, v89, -v90
	v_fmac_f16_e32 v22, v36, v17
	v_fmac_f16_e32 v23, v67, v3
	v_fma_f16 v81, v68, v91, -v92
	v_fma_f16 v82, v69, v93, -v94
	v_fma_f16 v83, v28, v95, -v96
	v_fmac_f16_e32 v24, v68, v4
	v_fmac_f16_e32 v25, v69, v5
	;; [unrolled: 1-line block ×3, first 2 shown]
	v_pack_b32_f16 v0, v1, v71
	v_pack_b32_f16 v1, v6, v72
	;; [unrolled: 1-line block ×13, first 2 shown]
	ds_store_2addr_b32 v37, v0, v1 offset0:13 offset1:27
	ds_store_2addr_b32 v37, v2, v3 offset0:41 offset1:55
	;; [unrolled: 1-line block ×6, first 2 shown]
	ds_store_b32 v37, v14 offset:724
.LBB0_3:
	s_wait_alu 0xfffe
	s_or_b32 exec_lo, exec_lo, s2
	global_wb scope:SCOPE_SE
	s_wait_dscnt 0x0
	s_wait_kmcnt 0x0
	s_barrier_signal -1
	s_barrier_wait -1
	global_inv scope:SCOPE_SE
	ds_load_2addr_b32 v[25:26], v41 offset1:14
	ds_load_2addr_b32 v[33:34], v41 offset0:28 offset1:42
	ds_load_2addr_b32 v[29:30], v41 offset0:56 offset1:70
	;; [unrolled: 1-line block ×5, first 2 shown]
	ds_load_b32 v81, v41 offset:672
	s_load_b64 s[0:1], s[0:1], 0x8
	v_add_co_u32 v23, s2, s12, v9
	s_wait_alu 0xf1ff
	v_add_co_ci_u32_e64 v24, null, s13, 0, s2
	v_mov_b32_e32 v0, 0
                                        ; kill: def $vgpr1 killed $sgpr0 killed $exec
                                        ; implicit-def: $vgpr3
                                        ; implicit-def: $vgpr19
                                        ; implicit-def: $vgpr7
                                        ; implicit-def: $vgpr4
                                        ; implicit-def: $vgpr22
                                        ; implicit-def: $vgpr80
	s_and_saveexec_b32 s2, vcc_lo
	s_cbranch_execz .LBB0_5
; %bb.4:
	ds_load_2addr_b32 v[0:1], v37 offset0:13 offset1:27
	ds_load_2addr_b32 v[21:22], v37 offset0:41 offset1:55
	ds_load_2addr_b32 v[6:7], v37 offset0:69 offset1:83
	ds_load_2addr_b32 v[2:3], v37 offset0:97 offset1:111
	ds_load_2addr_b32 v[19:20], v37 offset0:125 offset1:139
	ds_load_2addr_b32 v[4:5], v37 offset0:153 offset1:167
	ds_load_b32 v80, v37 offset:724
.LBB0_5:
	s_wait_alu 0xfffe
	s_or_b32 exec_lo, exec_lo, s2
	s_wait_dscnt 0x0
	v_pk_add_f16 v10, v1, v80 neg_lo:[0,1] neg_hi:[0,1]
	v_pk_add_f16 v12, v80, v1
	v_pk_add_f16 v78, v21, v5 neg_lo:[0,1] neg_hi:[0,1]
	v_pk_add_f16 v86, v5, v21
	v_pk_add_f16 v103, v22, v4 neg_lo:[0,1] neg_hi:[0,1]
	v_lshrrev_b32_e32 v11, 16, v10
	v_lshrrev_b32_e32 v13, 16, v12
	v_mul_f16_e32 v14, 0xba95, v10
	v_mul_f16_e32 v15, 0xbbf1, v10
	;; [unrolled: 1-line block ×10, first 2 shown]
	v_lshrrev_b32_e32 v84, 16, v78
	v_pk_mul_f16 v10, 0xb3a8b770, v10
	v_fmamk_f16 v67, v13, 0x388b, v14
	v_fma_f16 v69, v12, 0x3b15, -v17
	v_fmac_f16_e32 v17, 0x3b15, v12
	v_fma_f16 v70, v12, 0x388b, -v18
	v_fmac_f16_e32 v18, 0x388b, v12
	;; [unrolled: 2-line block ×5, first 2 shown]
	v_lshrrev_b32_e32 v88, 16, v86
	v_mul_f16_e32 v89, 0xbb7b, v78
	v_mul_f16_e32 v92, 0xb3a8, v84
	v_pk_add_f16 v108, v4, v22
	v_pk_fma_f16 v148, 0x3b15bbc4, v12, v10 op_sel:[0,0,1] op_sel_hi:[1,1,0]
	v_pk_fma_f16 v10, 0x3b15bbc4, v12, v10 op_sel:[0,0,1] op_sel_hi:[1,1,0] neg_lo:[0,0,1] neg_hi:[0,0,1]
	v_lshrrev_b32_e32 v12, 16, v0
	v_fma_f16 v14, v13, 0x388b, -v14
	v_fmamk_f16 v76, v13, 0xb5ac, v73
	v_fmamk_f16 v82, v13, 0xb9fd, v11
	v_fma_f16 v85, v13, 0xb9fd, -v11
	v_mul_f16_e32 v87, 0xba95, v84
	v_fmamk_f16 v93, v88, 0xb5ac, v89
	v_fma_f16 v95, v86, 0xbbc4, -v92
	v_mul_f16_e32 v96, 0x394e, v84
	v_mul_f16_e32 v97, 0x394e, v78
	v_mul_f16_e32 v102, 0x3bf1, v78
	v_lshrrev_b32_e32 v106, 16, v103
	v_lshrrev_b32_e32 v112, 16, v108
	v_mul_f16_e32 v113, 0xb3a8, v103
	v_pk_add_f16 v126, v6, v20 neg_lo:[0,1] neg_hi:[0,1]
	v_pk_add_f16 v131, v20, v6
	v_add_f16_e32 v67, v67, v12
	v_add_f16_e32 v71, v71, v0
	v_fmamk_f16 v74, v13, 0x2fb7, v15
	v_fma_f16 v15, v13, 0x2fb7, -v15
	v_fma_f16 v73, v13, 0xb5ac, -v73
	v_fmamk_f16 v11, v13, 0xbbc4, v83
	v_fma_f16 v13, v13, 0xbbc4, -v83
	v_mul_f16_e32 v83, 0xbb7b, v84
	v_fma_f16 v90, v86, 0x388b, -v87
	v_mul_f16_e32 v94, 0xb3a8, v78
	v_fma_f16 v89, v88, 0xb5ac, -v89
	v_fma_f16 v100, v86, 0xb9fd, -v96
	v_fmamk_f16 v101, v88, 0xb9fd, v97
	v_mul_f16_e32 v84, 0x3bf1, v84
	v_fmac_f16_e32 v96, 0xb9fd, v86
	v_fmamk_f16 v105, v88, 0x2fb7, v102
	v_fma_f16 v102, v88, 0x2fb7, -v102
	v_mul_f16_e32 v116, 0x3b7b, v106
	v_fmamk_f16 v117, v112, 0xbbc4, v113
	v_mul_f16_e32 v125, 0xba95, v103
	v_lshrrev_b32_e32 v129, 16, v126
	v_lshrrev_b32_e32 v135, 16, v131
	v_mul_f16_e64 v136, 0x394e, v126
	v_add_f16_e32 v69, v69, v0
	v_add_f16_e32 v67, v93, v67
	v_pk_add_f16 v93, v7, v19 neg_lo:[0,1] neg_hi:[0,1]
	v_add_f16_e32 v14, v14, v12
	v_add_f16_e32 v71, v95, v71
	v_pk_add_f16 v95, v19, v7
	v_add_f16_e32 v76, v76, v12
	v_add_f16_e32 v72, v72, v0
	;; [unrolled: 1-line block ×4, first 2 shown]
	v_fmac_f16_e32 v87, 0x388b, v86
	v_fma_f16 v91, v86, 0xb5ac, -v83
	v_fmac_f16_e32 v83, 0xb5ac, v86
	v_fmamk_f16 v99, v88, 0xbbc4, v94
	v_fmac_f16_e32 v92, 0xbbc4, v86
	v_fma_f16 v94, v88, 0xbbc4, -v94
	v_fma_f16 v104, v86, 0x2fb7, -v84
	v_fmac_f16_e32 v84, 0x2fb7, v86
	v_mul_f16_e32 v107, 0x3770, v78
	v_mul_f16_e32 v110, 0xbbf1, v106
	;; [unrolled: 1-line block ×4, first 2 shown]
	v_fma_f16 v119, v108, 0xb5ac, -v116
	v_mul_f16_e32 v120, 0x3770, v106
	v_mul_f16_e32 v121, 0x3770, v103
	;; [unrolled: 1-line block ×3, first 2 shown]
	v_fma_f16 v128, 0x388b, v112, v125
	v_fma_f16 v125, v112, 0x388b, -v125
	v_mul_f16_e64 v139, 0x3770, v129
	v_fma_f16 v140, 0xb9fd, v135, v136
	v_add_f16_e32 v17, v17, v0
	v_add_f16_e32 v70, v70, v0
	;; [unrolled: 1-line block ×3, first 2 shown]
	v_mul_f16_e32 v90, 0x33a8, v126
	v_add_f16_e32 v18, v18, v0
	v_add_f16_e32 v74, v74, v12
	;; [unrolled: 1-line block ×3, first 2 shown]
	v_lshrrev_b32_e32 v89, 16, v93
	v_add_f16_e32 v68, v68, v0
	v_add_f16_e32 v15, v15, v12
	;; [unrolled: 1-line block ×3, first 2 shown]
	v_lshrrev_b32_e32 v101, 16, v95
	v_add_f16_e32 v79, v79, v0
	v_add_f16_e32 v72, v96, v72
	v_mul_f16_e32 v96, 0x3bf1, v93
	v_add_f16_e32 v77, v77, v0
	v_pk_mul_f16 v78, 0x3770ba95, v78
	v_add_f16_e32 v82, v105, v82
	v_add_f16_e32 v85, v102, v85
	;; [unrolled: 1-line block ×3, first 2 shown]
	v_fma_f16 v114, v108, 0x2fb7, -v110
	v_fmac_f16_e32 v110, 0x2fb7, v108
	v_fma_f16 v115, v108, 0xbbc4, -v111
	v_fmac_f16_e32 v111, 0xbbc4, v108
	v_fmamk_f16 v122, v112, 0xb5ac, v118
	v_fmac_f16_e32 v116, 0xb5ac, v108
	v_fma_f16 v118, v112, 0xb5ac, -v118
	v_fmamk_f16 v124, v112, 0x3b15, v121
	v_fma_f16 v127, v108, 0x388b, -v106
	v_fmac_f16_e32 v106, 0x388b, v108
	v_mul_f16_e64 v130, 0xb94e, v103
	v_mul_f16_e64 v141, 0x3770, v126
	v_fma_f16 v142, v131, 0x3b15, -v139
	v_mul_f16_e64 v144, 0xbbf1, v126
	v_add_f16_e32 v17, v87, v17
	v_add_f16_e32 v70, v91, v70
	v_fma_f16 v91, 0xbbc4, v135, v90
	v_fma_f16 v90, v135, 0xbbc4, -v90
	v_add_f16_e32 v18, v83, v18
	v_add_f16_e32 v74, v99, v74
	;; [unrolled: 1-line block ×5, first 2 shown]
	v_fmamk_f16 v104, v101, 0x2fb7, v96
	v_mul_f16_e32 v105, 0xba95, v89
	v_pk_add_f16 v10, v10, v0
	v_add_f16_e32 v77, v84, v77
	v_pk_fma_f16 v84, 0x388b3b15, v86, v78 op_sel:[0,0,1] op_sel_hi:[1,1,0] neg_lo:[0,0,1] neg_hi:[0,0,1]
	v_add_f16_e32 v71, v119, v71
	v_pk_mul_f16 v103, 0xb94ebbf1, v103
	v_add_f16_e64 v82, v128, v82
	v_add_f16_e32 v85, v125, v85
	v_add_f16_e64 v67, v140, v67
	v_pk_mul_f16 v86, 0x388b3b15, v86
	v_fma_f16 v97, v88, 0xb9fd, -v97
	v_mul_f16_e32 v109, 0x3b15, v88
	v_fma_f16 v88, v88, 0x3b15, -v107
	v_fma_f16 v123, v108, 0x3b15, -v120
	v_fmac_f16_e32 v120, 0x3b15, v108
	v_mul_f16_e64 v133, 0xbb7b, v129
	v_mul_f16_e64 v134, 0x394e, v129
	;; [unrolled: 1-line block ×3, first 2 shown]
	v_fma_f16 v145, 0x3b15, v135, v141
	v_fmac_f16_e64 v139, 0x3b15, v131
	v_fma_f16 v147, 0x2fb7, v135, v144
	v_mul_f16_e64 v129, 0x33a8, v129
	v_add_f16_e32 v75, v75, v0
	v_add_f16_e32 v13, v13, v12
	v_mul_f16_e32 v102, 0xba95, v93
	v_pk_add_f16 v10, v84, v10
	v_fma_f16 v84, v95, 0x388b, -v105
	v_add_f16_e32 v17, v110, v17
	v_mul_f16_e32 v110, 0x33a8, v93
	v_add_f16_e32 v18, v111, v18
	v_mul_f16_e32 v111, 0x3770, v93
	v_add_f16_e32 v74, v122, v74
	v_add_f16_e32 v68, v116, v68
	;; [unrolled: 1-line block ×3, first 2 shown]
	v_mul_f16_e32 v118, 0xbb7b, v93
	v_add_f16_e32 v76, v124, v76
	v_add_f16_e32 v77, v106, v77
	v_pk_fma_f16 v106, 0x2fb7b9fd, v108, v103 op_sel:[0,0,1] op_sel_hi:[1,1,0] neg_lo:[0,0,1] neg_hi:[0,0,1]
	v_add_f16_e64 v71, v142, v71
	v_pk_mul_f16 v108, 0x2fb7b9fd, v108
	v_add_f16_e32 v82, v91, v82
	v_add_f16_e32 v85, v90, v85
	v_pk_mul_f16 v90, 0xbb7bb94e, v93
	v_add_f16_e32 v91, v104, v67
	v_lshrrev_b32_e32 v67, 16, v86
	v_lshrrev_b32_e32 v93, 16, v148
	v_fma_f16 v113, v112, 0xbbc4, -v113
	v_fma_f16 v137, v131, 0xb5ac, -v133
	;; [unrolled: 1-line block ×3, first 2 shown]
	v_mul_f16_e32 v99, 0xb94e, v89
	v_add_f16_e32 v75, v100, v75
	v_add_f16_e32 v73, v73, v12
	;; [unrolled: 1-line block ×3, first 2 shown]
	v_fmamk_f16 v88, v101, 0x388b, v102
	v_fmac_f16_e32 v105, 0x388b, v95
	v_add_f16_e32 v69, v114, v69
	v_add_f16_e32 v79, v127, v79
	v_add_f16_e64 v74, v145, v74
	v_add_f16_e64 v68, v139, v68
	;; [unrolled: 1-line block ×3, first 2 shown]
	v_pk_mul_f16 v147, 0xb5ac388b, v131
	v_add_f16_e32 v84, v84, v71
	v_add_f16_e32 v67, v78, v67
	;; [unrolled: 1-line block ×3, first 2 shown]
	v_lshrrev_b32_e32 v71, 16, v108
	v_fma_f16 v136, v135, 0xb9fd, -v136
	v_mul_f16_e32 v83, 0x3a95, v126
	v_fma_f16 v94, v95, 0xb9fd, -v99
	v_add_f16_e32 v14, v113, v14
	v_pk_add_f16 v119, v2, v3 neg_lo:[0,1] neg_hi:[0,1]
	v_add_f16_e32 v75, v123, v75
	v_pk_add_f16 v123, v3, v2
	v_add_f16_e64 v69, v137, v69
	v_pk_mul_f16 v126, 0x3a95bb7b, v126
	v_add_f16_e32 v79, v87, v79
	v_pk_mul_f16 v87, 0xb9fdb5ac, v95
	v_add_f16_e32 v74, v88, v74
	v_add_f16_e32 v88, v105, v68
	;; [unrolled: 1-line block ×4, first 2 shown]
	v_lshrrev_b32_e32 v68, 16, v147
	v_fma_f16 v121, v112, 0x3b15, -v121
	v_mul_f16_e64 v132, 0xb9fd, v112
	v_fma_f16 v112, v112, 0xb9fd, -v130
	v_fmac_f16_e64 v133, 0xb5ac, v131
	v_fma_f16 v138, v131, 0xb9fd, -v134
	v_fmac_f16_e64 v134, 0xb9fd, v131
	v_mul_f16_e32 v100, 0x3bf1, v89
	v_fma_f16 v96, v101, 0x2fb7, -v96
	v_add_f16_e32 v70, v115, v70
	v_lshrrev_b32_e32 v116, 16, v119
	v_add_f16_e64 v14, v136, v14
	v_add_f16_e32 v69, v94, v69
	v_add_f16_e32 v12, v67, v12
	;; [unrolled: 1-line block ×3, first 2 shown]
	v_lshrrev_b32_e32 v68, 16, v87
	v_pk_mul_f16 v94, 0xbbc42fb7, v123
	v_fma_f16 v141, v135, 0x3b15, -v141
	v_fma_f16 v146, v131, 0x2fb7, -v143
	v_fmac_f16_e64 v143, 0x2fb7, v131
	v_fma_f16 v144, v135, 0x2fb7, -v144
	v_mul_f16_e64 v92, 0x388b, v135
	v_fma_f16 v135, v135, 0x388b, -v83
	v_fmac_f16_e32 v99, 0xb9fd, v95
	v_add_f16_e32 v73, v97, v73
	v_fma_f16 v97, v95, 0x2fb7, -v100
	v_fmac_f16_e32 v100, 0x2fb7, v95
	v_mul_f16_e32 v114, 0x33a8, v89
	v_mul_f16_e32 v124, 0xb3a8, v116
	v_add_f16_e32 v72, v120, v72
	v_mul_f16_e32 v127, 0x3770, v116
	v_lshrrev_b32_e32 v128, 16, v123
	v_add_f16_e32 v13, v112, v13
	v_add_f16_e64 v17, v133, v17
	v_mul_f16_e64 v133, 0xb94e, v119
	v_add_f16_e64 v70, v138, v70
	v_add_f16_e64 v18, v134, v18
	v_add_f16_e32 v14, v96, v14
	v_pk_mul_f16 v96, 0x3bf1b3a8, v119
	v_add_f16_e32 v12, v67, v12
	v_add_f16_e32 v67, v90, v68
	v_lshrrev_b32_e32 v68, 16, v94
	v_pk_add_f16 v16, v25, v26
	v_fmac_f16_e64 v129, 0xbbc4, v131
	v_fma_f16 v102, v101, 0x388b, -v102
	v_fma_f16 v115, v95, 0xbbc4, -v114
	v_fmamk_f16 v117, v101, 0xbbc4, v110
	v_fmac_f16_e32 v114, 0xbbc4, v95
	v_mul_f16_e32 v89, 0x3770, v89
	v_fma_f16 v110, v101, 0xbbc4, -v110
	v_fmamk_f16 v122, v101, 0x3b15, v111
	v_fma_f16 v111, v101, 0x3b15, -v111
	v_mul_f16_e32 v120, 0xb5ac, v101
	v_fma_f16 v101, v101, 0xb5ac, -v118
	v_add_f16_e32 v73, v121, v73
	v_fma_f16 v121, v123, 0xbbc4, -v124
	v_mul_f16_e32 v125, 0x3770, v119
	v_fmac_f16_e32 v124, 0xbbc4, v123
	v_pk_add_f16 v10, v106, v10
	v_fma_f16 v106, v123, 0x3b15, -v127
	v_fmac_f16_e32 v127, 0x3b15, v123
	v_mul_f16_e64 v137, 0xb94e, v116
	v_fma_f16 v140, 0xb9fd, v128, v133
	v_mul_f16_e64 v134, 0x3a95, v116
	v_mul_f16_e64 v136, 0x3a95, v119
	v_add_f16_e64 v15, v141, v15
	v_add_f16_e64 v75, v146, v75
	;; [unrolled: 1-line block ×3, first 2 shown]
	v_pk_fma_f16 v131, 0xb5ac388b, v131, v126 op_sel:[0,0,1] op_sel_hi:[1,1,0] neg_lo:[0,0,1] neg_hi:[0,0,1]
	v_add_f16_e64 v13, v135, v13
	v_add_f16_e32 v17, v99, v17
	v_add_f16_e32 v70, v97, v70
	;; [unrolled: 1-line block ×5, first 2 shown]
	v_fma_f16 v113, v95, 0x3b15, -v89
	v_fmac_f16_e32 v89, 0x3b15, v95
	v_fma_f16 v112, 0x3b15, v128, v125
	v_fma_f16 v125, v128, 0x3b15, -v125
	v_fma_f16 v138, v123, 0xb9fd, -v137
	;; [unrolled: 1-line block ×4, first 2 shown]
	v_fma_f16 v145, 0x388b, v128, v136
	v_add_f16_e64 v77, v129, v77
	v_pk_add_f16 v10, v131, v10
	v_add_f16_e32 v15, v102, v15
	v_add_f16_e32 v75, v115, v75
	;; [unrolled: 1-line block ×4, first 2 shown]
	v_pk_fma_f16 v71, 0xb9fdb5ac, v95, v90 op_sel:[0,0,1] op_sel_hi:[1,1,0] neg_lo:[0,0,1] neg_hi:[0,0,1]
	v_add_f16_e32 v95, v101, v13
	v_add_f16_e32 v72, v67, v12
	;; [unrolled: 1-line block ×5, first 2 shown]
	v_add_f16_e64 v70, v140, v74
	v_pack_b32_f16 v17, v107, v148
	v_perm_b32 v18, v0, v109, 0x5040100
	v_pack_b32_f16 v74, v11, v86
	v_perm_b32 v78, v78, v0, 0x7060302
	v_pk_add_f16 v16, v16, v33
	v_mul_f16_e32 v116, 0xbb7b, v116
	v_add_f16_e32 v77, v89, v77
	v_pk_add_f16 v89, v71, v10
	v_add_f16_e32 v10, v121, v69
	v_add_f16_e32 v68, v125, v14
	v_add_f16_e64 v14, v138, v84
	v_add_f16_e64 v69, v133, v15
	;; [unrolled: 1-line block ×3, first 2 shown]
	v_pk_add_f16 v17, v17, v18
	v_pk_add_f16 v75, v74, v78
	v_pack_b32_f16 v78, v130, v108
	v_bfi_b32 v84, 0xffff, v132, v103
	v_add_f16_e64 v74, v145, v76
	v_pk_add_f16 v76, v16, v34
	v_fma_f16 v141, v123, 0xb5ac, -v116
	v_add_f16_e32 v79, v113, v79
	v_pk_add_f16 v17, v75, v17
	v_pk_add_f16 v75, v78, v84
	v_pack_b32_f16 v78, v83, v147
	v_bfi_b32 v83, 0xffff, v92, v126
	v_pk_add_f16 v76, v76, v29
	v_mul_f16_e64 v139, 0xbb7b, v119
	v_add_f16_e64 v16, v141, v79
	v_pk_add_f16 v17, v75, v17
	v_pk_add_f16 v75, v78, v83
	v_pack_b32_f16 v78, v118, v87
	v_bfi_b32 v79, 0xffff, v120, v90
	v_pk_add_f16 v76, v76, v30
	v_mul_f16_e32 v83, 0x3bf1, v119
	v_mul_f16_e64 v84, 0x2fb7, v128
	v_fma_f16 v146, 0xb5ac, v128, v139
	v_fmac_f16_e32 v116, 0xb5ac, v123
	v_add_f16_e32 v82, v122, v82
	v_pk_add_f16 v75, v75, v17
	v_pk_add_f16 v78, v78, v79
	;; [unrolled: 1-line block ×3, first 2 shown]
	v_pack_b32_f16 v86, v83, v94
	v_bfi_b32 v84, 0xffff, v84, v96
	v_add_f16_e64 v76, v146, v82
	v_add_f16_e32 v17, v116, v77
	v_pk_add_f16 v77, v79, v28
	v_pk_add_f16 v78, v78, v75
	;; [unrolled: 1-line block ×3, first 2 shown]
	v_fma_f16 v139, v128, 0xb5ac, -v139
	v_add_f16_e32 v85, v111, v85
	v_fma_f16 v83, v128, 0x2fb7, -v83
	v_pk_add_f16 v84, v77, v31
	v_pk_add_f16 v78, v82, v78
	v_pk_add_f16 v82, v26, v81 neg_lo:[0,1] neg_hi:[0,1]
	v_add_f16_e64 v75, v139, v85
	v_add_f16_e32 v77, v83, v95
	v_pk_add_f16 v83, v84, v32
	v_mul_lo_u16 v84, v58, 13
	v_lshrrev_b32_e32 v85, 16, v82
	v_fmac_f16_e64 v137, 0xb9fd, v123
	v_pk_fma_f16 v97, 0xbbc42fb7, v123, v96 op_sel:[0,0,1] op_sel_hi:[1,1,0] neg_lo:[0,0,1] neg_hi:[0,0,1]
	v_pk_add_f16 v86, v83, v35
	v_pk_add_f16 v83, v81, v26
	v_and_b32_e32 v26, 0xffff, v84
	v_mul_f16_e32 v84, 0xb770, v85
	v_pk_add_f16 v105, v33, v36 neg_lo:[0,1] neg_hi:[0,1]
	v_add_f16_e64 v11, v137, v88
	v_pk_add_f16 v79, v97, v89
	v_pk_add_f16 v87, v86, v36
	v_pk_mul_f16 v88, 0x3b15388b, v83
	v_fma_f16 v89, v83, 0x3b15, -v84
	v_lshrrev_b32_e32 v106, 16, v105
	v_fmac_f16_e64 v134, 0x388b, v123
	v_add_f16_e64 v73, v144, v73
	v_lshl_add_u32 v86, v26, 2, v37
	v_pk_add_f16 v26, v87, v81
	v_pk_fma_f16 v81, 0xba95b770, v82, v88 op_sel:[0,0,1] op_sel_hi:[1,1,0] neg_lo:[0,1,0] neg_hi:[0,1,0]
	v_pk_fma_f16 v87, 0xba95b770, v82, v88 op_sel:[0,0,1] op_sel_hi:[1,1,0]
	v_fmac_f16_e32 v84, 0x3b15, v83
	v_add_f16_e32 v88, v25, v89
	v_lshrrev_b32_e32 v89, 16, v83
	v_mul_f16_e32 v90, 0xba95, v82
	v_mul_f16_e32 v96, 0xbbf1, v82
	;; [unrolled: 1-line block ×4, first 2 shown]
	v_pk_add_f16 v33, v36, v33
	v_mul_f16_e32 v107, 0xba95, v106
	v_add_f16_e32 v73, v110, v73
	v_add_f16_e64 v18, v134, v93
	v_add_f16_e32 v84, v25, v84
	v_lshrrev_b32_e32 v93, 16, v25
	v_fmamk_f16 v94, v89, 0x388b, v90
	v_fma_f16 v90, v89, 0x388b, -v90
	v_fmamk_f16 v97, v89, 0x2fb7, v96
	v_fma_f16 v96, v89, 0x2fb7, -v96
	;; [unrolled: 2-line block ×4, first 2 shown]
	v_pk_mul_f16 v104, 0x388bb5ac, v33
	v_fma_f16 v109, v33, 0x388b, -v107
	v_fmac_f16_e32 v107, 0x388b, v33
	v_lshrrev_b32_e32 v110, 16, v33
	v_mul_f16_e32 v111, 0xbb7b, v105
	v_add_f16_e32 v71, v112, v91
	v_bfi_b32 v91, 0xffff, v87, v81
	v_mul_f16_e32 v92, 0xbbf1, v85
	v_add_f16_e32 v94, v93, v94
	v_pk_add_f16 v87, v25, v87 op_sel:[1,0] op_sel_hi:[0,1]
	v_mul_f16_e32 v99, 0xbb7b, v85
	v_pk_fma_f16 v108, 0xbb7bba95, v105, v104 op_sel:[0,0,1] op_sel_hi:[1,1,0] neg_lo:[0,1,0] neg_hi:[0,1,0]
	v_pk_fma_f16 v104, 0xbb7bba95, v105, v104 op_sel:[0,0,1] op_sel_hi:[1,1,0]
	v_add_f16_e32 v84, v107, v84
	v_fmamk_f16 v107, v110, 0xb5ac, v111
	v_mul_f16_e32 v113, 0xb3a8, v105
	v_pk_add_f16 v91, v25, v91 op_sel:[1,0] op_sel_hi:[0,1]
	v_fma_f16 v95, v83, 0x2fb7, -v92
	v_add_f16_e32 v90, v93, v90
	v_fmac_f16_e32 v92, 0x2fb7, v83
	v_add_f16_e32 v97, v93, v97
	v_fma_f16 v101, v83, 0xb5ac, -v99
	v_fmac_f16_e32 v99, 0xb5ac, v83
	v_bfi_b32 v112, 0xffff, v104, v108
	v_add_f16_e32 v88, v109, v88
	v_mul_f16_e32 v109, 0xb3a8, v106
	v_fma_f16 v111, v110, 0xb5ac, -v111
	v_add_f16_e32 v94, v107, v94
	v_pk_add_f16 v87, v104, v87
	v_fmamk_f16 v104, v110, 0xbbc4, v113
	v_mul_f16_e32 v107, 0x394e, v106
	v_add_f16_e32 v92, v25, v92
	v_mul_f16_e32 v85, 0xb94e, v85
	v_add_f16_e32 v101, v25, v101
	v_add_f16_e32 v99, v25, v99
	v_pk_add_f16 v91, v112, v91
	v_fma_f16 v112, v33, 0xbbc4, -v109
	v_add_f16_e32 v90, v111, v90
	v_fmac_f16_e32 v109, 0xbbc4, v33
	v_mul_f16_e32 v111, 0x394e, v105
	v_add_f16_e32 v97, v104, v97
	v_fma_f16 v104, v33, 0xb9fd, -v107
	v_fmac_f16_e32 v107, 0xb9fd, v33
	v_add_f16_e32 v102, v93, v102
	v_fma_f16 v103, v83, 0xb9fd, -v85
	v_add_f16_e32 v100, v93, v100
	v_add_f16_e32 v92, v109, v92
	v_fmamk_f16 v109, v110, 0xb9fd, v111
	v_mul_f16_e32 v106, 0x3bf1, v106
	v_add_f16_e32 v101, v104, v101
	v_fma_f16 v104, v110, 0xb9fd, -v111
	v_add_f16_e32 v99, v107, v99
	v_mul_f16_e32 v107, 0x3bf1, v105
	v_pk_add_f16 v111, v34, v35 neg_lo:[0,1] neg_hi:[0,1]
	v_add_f16_e32 v103, v25, v103
	v_fmac_f16_e32 v85, 0xb9fd, v83
	v_add_f16_e32 v36, v93, v36
	v_add_f16_e32 v102, v109, v102
	v_fma_f16 v109, v33, 0x2fb7, -v106
	v_add_f16_e32 v100, v104, v100
	v_pk_add_f16 v34, v35, v34
	v_fmamk_f16 v35, v110, 0x2fb7, v107
	v_lshrrev_b32_e32 v104, 16, v111
	v_add_f16_e32 v95, v25, v95
	v_add_f16_e32 v85, v25, v85
	;; [unrolled: 1-line block ×4, first 2 shown]
	v_fmac_f16_e32 v106, 0x2fb7, v33
	v_fma_f16 v107, v110, 0x2fb7, -v107
	v_pk_mul_f16 v109, 0x2fb7bbc4, v34
	v_add_f16_e32 v35, v35, v36
	v_mul_f16_e32 v36, 0xbbf1, v104
	v_add_f16_e32 v96, v93, v96
	v_add_f16_e32 v95, v112, v95
	v_fma_f16 v112, v110, 0xbbc4, -v113
	v_add_f16_e32 v85, v106, v85
	v_add_f16_e32 v89, v107, v89
	v_pk_fma_f16 v106, 0xb3a8bbf1, v111, v109 op_sel:[0,0,1] op_sel_hi:[1,1,0] neg_lo:[0,1,0] neg_hi:[0,1,0]
	v_pk_fma_f16 v107, 0xb3a8bbf1, v111, v109 op_sel:[0,0,1] op_sel_hi:[1,1,0]
	v_fma_f16 v109, v34, 0x2fb7, -v36
	v_add_f16_e32 v96, v112, v96
	v_fmac_f16_e32 v36, 0x2fb7, v34
	v_lshrrev_b32_e32 v110, 16, v34
	v_mul_f16_e32 v112, 0xb3a8, v111
	v_bfi_b32 v113, 0xffff, v107, v106
	v_add_f16_e32 v88, v109, v88
	v_mul_f16_e32 v109, 0x3b7b, v104
	v_add_f16_e32 v36, v36, v84
	v_fmamk_f16 v84, v110, 0xbbc4, v112
	v_pk_add_f16 v91, v113, v91
	v_fma_f16 v112, v110, 0xbbc4, -v112
	v_fma_f16 v113, v34, 0xb5ac, -v109
	v_mul_f16_e32 v114, 0x3b7b, v111
	v_add_f16_e32 v84, v84, v94
	v_pk_add_f16 v87, v107, v87
	v_add_f16_e32 v90, v112, v90
	v_add_f16_e32 v94, v113, v95
	v_fmamk_f16 v95, v110, 0xb5ac, v114
	v_fmac_f16_e32 v109, 0xb5ac, v34
	v_mul_f16_e32 v107, 0x3770, v104
	v_mul_f16_e32 v112, 0x3770, v111
	;; [unrolled: 1-line block ×3, first 2 shown]
	v_add_f16_e32 v95, v95, v97
	v_add_f16_e32 v92, v109, v92
	v_fma_f16 v97, v34, 0x3b15, -v107
	v_fmamk_f16 v109, v110, 0x3b15, v112
	v_fmac_f16_e32 v107, 0x3b15, v34
	v_fma_f16 v113, v110, 0xb5ac, -v114
	v_add_f16_e32 v81, v93, v81
	v_add_f16_e32 v97, v97, v101
	v_add_f16_e32 v101, v109, v102
	v_fma_f16 v102, v110, 0x3b15, -v112
	v_fma_f16 v109, v34, 0x388b, -v104
	v_add_f16_e32 v99, v107, v99
	v_mul_f16_e32 v107, 0xba95, v111
	v_pk_add_f16 v112, v29, v32 neg_lo:[0,1] neg_hi:[0,1]
	v_add_f16_e32 v100, v102, v100
	v_add_f16_e32 v102, v109, v103
	v_pk_add_f16 v29, v32, v29
	v_fmamk_f16 v32, v110, 0x388b, v107
	v_lshrrev_b32_e32 v103, 16, v112
	v_fmac_f16_e32 v104, 0x388b, v34
	v_fma_f16 v107, v110, 0x388b, -v107
	v_pk_mul_f16 v109, 0xb5acb9fd, v29
	v_add_f16_e32 v32, v32, v35
	v_mul_f16_e32 v35, 0xbb7b, v103
	v_add_f16_e32 v85, v104, v85
	v_add_f16_e32 v89, v107, v89
	v_pk_fma_f16 v104, 0x394ebb7b, v112, v109 op_sel:[0,0,1] op_sel_hi:[1,1,0] neg_lo:[0,1,0] neg_hi:[0,1,0]
	v_pk_fma_f16 v107, 0x394ebb7b, v112, v109 op_sel:[0,0,1] op_sel_hi:[1,1,0]
	v_fma_f16 v109, v29, 0xb5ac, -v35
	v_add_f16_e32 v96, v113, v96
	v_lshrrev_b32_e32 v110, 16, v29
	v_mul_f16_e32 v113, 0x394e, v112
	v_fmac_f16_e32 v35, 0xb5ac, v29
	v_bfi_b32 v114, 0xffff, v107, v104
	v_add_f16_e32 v88, v109, v88
	v_mul_f16_e32 v109, 0x3770, v103
	v_fmamk_f16 v115, v110, 0xb9fd, v113
	v_add_f16_e32 v35, v35, v36
	v_pk_add_f16 v36, v114, v91
	v_fma_f16 v91, v110, 0xb9fd, -v113
	v_fma_f16 v113, v29, 0x3b15, -v109
	v_pk_add_f16 v87, v107, v87
	v_mul_f16_e32 v107, 0x3770, v112
	v_fmac_f16_e32 v109, 0x3b15, v29
	v_add_f16_e32 v90, v91, v90
	v_add_f16_e32 v91, v113, v94
	v_mul_f16_e32 v94, 0xbbf1, v103
	v_mul_f16_e32 v113, 0xbbf1, v112
	v_fmamk_f16 v114, v110, 0x3b15, v107
	v_fma_f16 v107, v110, 0x3b15, -v107
	v_add_f16_e32 v84, v115, v84
	v_fma_f16 v115, v29, 0x2fb7, -v94
	v_add_f16_e32 v92, v109, v92
	v_fmac_f16_e32 v94, 0x2fb7, v29
	v_add_f16_e32 v96, v107, v96
	v_fma_f16 v107, v110, 0x2fb7, -v113
	v_mul_f16_e32 v103, 0x33a8, v103
	v_pk_add_f16 v109, v30, v31 neg_lo:[0,1] neg_hi:[0,1]
	v_fmamk_f16 v116, v110, 0x2fb7, v113
	v_mul_f16_e32 v113, 0x33a8, v112
	v_add_f16_e32 v94, v94, v99
	v_add_f16_e32 v99, v107, v100
	v_fma_f16 v100, v29, 0xbbc4, -v103
	v_lshrrev_b32_e32 v107, 16, v109
	v_pk_add_f16 v30, v31, v30
	v_add_f16_e32 v95, v114, v95
	v_fmamk_f16 v114, v110, 0xbbc4, v113
	v_fmac_f16_e32 v103, 0xbbc4, v29
	v_add_f16_e32 v31, v100, v102
	v_mul_f16_e32 v100, 0xb94e, v107
	v_pk_mul_f16 v102, 0xb9fd2fb7, v30
	v_add_f16_e32 v97, v115, v97
	v_add_f16_e32 v32, v114, v32
	;; [unrolled: 1-line block ×3, first 2 shown]
	v_fma_f16 v103, v110, 0xbbc4, -v113
	v_fma_f16 v110, v30, 0xb9fd, -v100
	v_fmac_f16_e32 v100, 0xb9fd, v30
	v_pk_fma_f16 v113, 0x3bf1b94e, v109, v102 op_sel:[0,0,1] op_sel_hi:[1,1,0] neg_lo:[0,1,0] neg_hi:[0,1,0]
	v_pk_fma_f16 v102, 0x3bf1b94e, v109, v102 op_sel:[0,0,1] op_sel_hi:[1,1,0]
	v_lshrrev_b32_e32 v114, 16, v30
	v_mul_f16_e32 v115, 0x3bf1, v109
	v_add_f16_e32 v89, v103, v89
	v_add_f16_e32 v88, v110, v88
	;; [unrolled: 1-line block ×3, first 2 shown]
	v_bfi_b32 v100, 0xffff, v102, v113
	v_fmamk_f16 v103, v114, 0x2fb7, v115
	v_fma_f16 v110, v114, 0x2fb7, -v115
	v_mul_f16_e32 v115, 0xba95, v107
	v_add_f16_e32 v101, v116, v101
	v_mul_f16_e32 v116, 0xba95, v109
	v_pk_add_f16 v36, v100, v36
	v_add_f16_e32 v90, v110, v90
	v_fma_f16 v100, v30, 0x388b, -v115
	v_mul_f16_e32 v110, 0x33a8, v107
	v_add_f16_e32 v84, v103, v84
	v_fmamk_f16 v103, v114, 0x388b, v116
	v_mul_f16_e32 v117, 0x33a8, v109
	v_add_f16_e32 v91, v100, v91
	v_fma_f16 v100, v30, 0xbbc4, -v110
	v_fmac_f16_e32 v110, 0xbbc4, v30
	v_fmac_f16_e32 v115, 0x388b, v30
	v_add_f16_e32 v95, v103, v95
	v_fmamk_f16 v103, v114, 0xbbc4, v117
	v_mul_f16_e32 v107, 0x3770, v107
	v_add_f16_e32 v94, v110, v94
	v_pk_add_f16 v110, v27, v28 neg_lo:[0,1] neg_hi:[0,1]
	v_add_f16_e32 v92, v115, v92
	v_fma_f16 v115, v114, 0x388b, -v116
	v_add_f16_e32 v97, v100, v97
	v_add_f16_e32 v100, v103, v101
	v_fma_f16 v101, v114, 0xbbc4, -v117
	v_mul_f16_e32 v116, 0x3770, v109
	v_lshrrev_b32_e32 v93, 16, v110
	v_fma_f16 v103, v30, 0x3b15, -v107
	v_pk_add_f16 v27, v28, v27
	v_add_f16_e32 v99, v101, v99
	v_fmamk_f16 v101, v114, 0x3b15, v116
	v_add_f16_e32 v28, v108, v81
	v_mul_f16_e32 v81, 0xb3a8, v93
	v_add_f16_e32 v31, v103, v31
	v_mul_f16_e32 v108, 0xb94e, v93
	v_add_f16_e32 v32, v101, v32
	v_fma_f16 v101, v114, 0x3b15, -v116
	v_add_f16_e32 v28, v106, v28
	v_fma_f16 v103, v27, 0xbbc4, -v81
	v_fmac_f16_e32 v81, 0xbbc4, v27
	v_pk_mul_f16 v106, 0xbbc43b15, v27
	v_add_f16_e32 v89, v101, v89
	v_add_f16_e32 v28, v104, v28
	;; [unrolled: 1-line block ×4, first 2 shown]
	v_pk_fma_f16 v81, 0x3770b3a8, v110, v106 op_sel:[0,0,1] op_sel_hi:[1,1,0] neg_lo:[0,1,0] neg_hi:[0,1,0]
	v_pk_fma_f16 v101, 0x3770b3a8, v110, v106 op_sel:[0,0,1] op_sel_hi:[1,1,0]
	v_add_f16_e32 v28, v113, v28
	v_lshrrev_b32_e32 v103, 16, v27
	v_mul_f16_e32 v104, 0x3770, v110
	v_pk_mul_f16 v83, 0xbbc4, v83 op_sel_hi:[0,1]
	v_bfi_b32 v101, 0xffff, v101, v81
	v_add_f16_e32 v28, v81, v28
	v_mul_f16_e32 v113, 0xb9fd, v103
	v_fmamk_f16 v81, v103, 0x3b15, v104
	v_fma_f16 v104, v103, 0x3b15, -v104
	v_pk_add_f16 v36, v101, v36
	v_fma_f16 v101, v27, 0xb9fd, -v108
	v_pk_mul_f16 v33, 0x3b15, v33 op_sel_hi:[0,1]
	v_add_f16_e32 v81, v81, v84
	v_add_f16_e32 v84, v104, v90
	v_mul_f16_e32 v90, 0x3a95, v93
	v_add_f16_e32 v91, v101, v91
	v_fmamk_f16 v101, v110, 0xb94e, v113
	v_mul_f16_e32 v104, 0x3a95, v110
	v_mul_f16_e32 v93, 0xbb7b, v93
	v_fma_f16 v114, v27, 0x388b, -v90
	v_fmac_f16_e32 v90, 0x388b, v27
	v_add_f16_e32 v95, v101, v95
	v_fmamk_f16 v101, v103, 0x388b, v104
	v_fma_f16 v104, v103, 0x388b, -v104
	v_pk_mul_f16 v34, 0xb9fd, v34 op_sel_hi:[0,1]
	v_add_f16_e32 v90, v90, v94
	v_pk_mul_f16 v29, 0x388b, v29 op_sel_hi:[0,1]
	v_fmac_f16_e32 v107, 0x3b15, v30
	v_add_f16_e32 v94, v104, v99
	v_fma_f16 v99, v27, 0xb5ac, -v93
	v_pk_fma_f16 v104, 0xb3a8, v82, v83 op_sel:[0,0,1] op_sel_hi:[0,1,0] neg_lo:[0,1,0] neg_hi:[0,1,0]
	v_pk_fma_f16 v82, 0xb3a8, v82, v83 op_sel:[0,0,1] op_sel_hi:[0,1,0]
	v_add_f16_e32 v100, v101, v100
	v_mul_f16_e32 v101, 0xbb7b, v110
	v_add_f16_e32 v31, v99, v31
	v_pk_add_f16 v99, v25, v104 op_sel:[1,0] op_sel_hi:[0,1]
	v_pk_add_f16 v25, v25, v82 op_sel:[1,0] op_sel_hi:[0,1]
	v_pk_fma_f16 v82, 0x3770, v105, v33 op_sel:[0,0,1] op_sel_hi:[0,1,0] neg_lo:[0,1,0] neg_hi:[0,1,0]
	v_pk_fma_f16 v33, 0x3770, v105, v33 op_sel:[0,0,1] op_sel_hi:[0,1,0]
	v_pk_mul_f16 v30, 0xb5ac, v30 op_sel_hi:[0,1]
	v_add_f16_e32 v85, v107, v85
	v_mul_f16_e32 v116, 0xb94e, v110
	v_pk_add_f16 v82, v82, v99
	v_pk_add_f16 v25, v33, v25
	v_pk_fma_f16 v33, 0xb94e, v111, v34 op_sel:[0,0,1] op_sel_hi:[0,1,0] neg_lo:[0,1,0] neg_hi:[0,1,0]
	v_pk_fma_f16 v34, 0xb94e, v111, v34 op_sel:[0,0,1] op_sel_hi:[0,1,0]
	v_fmamk_f16 v83, v103, 0xb5ac, v101
	v_fmac_f16_e32 v93, 0xb5ac, v27
	v_pk_mul_f16 v107, 0x3770b3a8, v110
	v_pk_add_f16 v33, v33, v82
	v_pk_add_f16 v25, v34, v25
	v_pk_fma_f16 v34, 0x3a95, v112, v29 op_sel:[0,0,1] op_sel_hi:[0,1,0] neg_lo:[0,1,0] neg_hi:[0,1,0]
	v_pk_fma_f16 v29, 0x3a95, v112, v29 op_sel:[0,0,1] op_sel_hi:[0,1,0]
	v_fmac_f16_e32 v108, 0xb9fd, v27
	v_add_f16_e32 v32, v83, v32
	v_add_f16_e32 v83, v93, v85
	v_pk_add_f16 v33, v34, v33
	v_pk_fma_f16 v34, 0xbb7b, v109, v30 op_sel:[0,0,1] op_sel_hi:[0,1,0] neg_lo:[0,1,0] neg_hi:[0,1,0]
	v_fma_f16 v85, v103, 0xb5ac, -v101
	v_pk_add_f16 v25, v29, v25
	v_pk_fma_f16 v29, 0xbb7b, v109, v30 op_sel:[0,0,1] op_sel_hi:[0,1,0]
	v_pk_mul_f16 v27, 0x2fb7, v27 op_sel_hi:[0,1]
	v_pk_add_f16 v33, v34, v33
	v_bfi_b32 v34, 0xffff, v116, v87
	v_add_f16_e32 v82, v85, v89
	v_alignbit_b32 v81, v81, v36, 16
	v_pack_b32_f16 v30, v88, v36
	v_pk_add_f16 v25, v29, v25
	v_pk_fma_f16 v29, 0x3bf1, v110, v27 op_sel:[0,0,1] op_sel_hi:[0,1,0] neg_lo:[0,1,0] neg_hi:[0,1,0]
	v_pack_b32_f16 v36, v115, v106
	v_bfi_b32 v85, 0xffff, v96, v107
	v_pk_add_f16 v34, v113, v34 neg_lo:[0,1] neg_hi:[0,1]
	v_pk_add_f16 v87, v102, v87
	v_pk_fma_f16 v27, 0x3bf1, v110, v27 op_sel:[0,0,1] op_sel_hi:[0,1,0]
	v_pack_b32_f16 v31, v31, v32
	v_pk_add_f16 v29, v29, v33
	v_pk_add_f16 v32, v36, v85
	v_bfi_b32 v33, 0xffff, v34, v87
	v_fma_f16 v136, v128, 0x388b, -v136
	v_add_f16_e32 v97, v114, v97
	v_pk_add_f16 v25, v27, v25
	global_wb scope:SCOPE_SE
	s_wait_kmcnt 0x0
	s_barrier_signal -1
	s_barrier_wait -1
	global_inv scope:SCOPE_SE
	v_add_f16_e32 v92, v108, v92
	ds_store_2addr_b32 v86, v26, v31 offset1:5
	v_pk_add_f16 v26, v33, v32
	v_add_f16_e64 v73, v136, v73
	v_pack_b32_f16 v27, v97, v100
	v_pack_b32_f16 v34, v91, v95
	v_alignbit_b32 v31, v29, v25, 16
	v_alignbit_b32 v25, v25, v29, 16
	v_pack_b32_f16 v29, v90, v94
	v_pack_b32_f16 v32, v83, v82
	v_alignbit_b32 v33, v84, v26, 16
	v_pack_b32_f16 v26, v92, v26
	v_pack_b32_f16 v28, v35, v28
	ds_store_2addr_b32 v86, v30, v81 offset0:1 offset1:2
	ds_store_2addr_b32 v86, v34, v27 offset0:3 offset1:4
	ds_store_2addr_b32 v86, v25, v31 offset0:6 offset1:7
	ds_store_2addr_b32 v86, v32, v29 offset0:8 offset1:9
	ds_store_2addr_b32 v86, v26, v33 offset0:10 offset1:11
	ds_store_b32 v86, v28 offset:48
	s_and_saveexec_b32 s2, vcc_lo
	s_cbranch_execz .LBB0_7
; %bb.6:
	v_pk_add_f16 v0, v1, v0
	v_perm_b32 v1, v72, v10, 0x5040100
	v_bfi_b32 v25, 0xffff, v67, v79
	s_delay_alu instid0(VALU_DEP_3) | instskip(SKIP_1) | instid1(VALU_DEP_2)
	v_pk_add_f16 v0, v21, v0
	v_perm_b32 v21, v68, v12, 0x5040100
	v_pk_add_f16 v0, v22, v0
	v_perm_b32 v22, v69, v11, 0x5040100
	s_delay_alu instid0(VALU_DEP_2) | instskip(SKIP_1) | instid1(VALU_DEP_2)
	v_pk_add_f16 v0, v6, v0
	v_perm_b32 v6, v78, v79, 0x5040100
	v_pk_add_f16 v0, v7, v0
	v_alignbit_b32 v7, v77, v78, 16
	s_delay_alu instid0(VALU_DEP_2) | instskip(SKIP_1) | instid1(VALU_DEP_2)
	v_pk_add_f16 v0, v2, v0
	v_perm_b32 v2, v70, v14, 0x5040100
	v_pk_add_f16 v0, v3, v0
	v_perm_b32 v3, v71, v13, 0x5040100
	s_delay_alu instid0(VALU_DEP_2) | instskip(SKIP_1) | instid1(VALU_DEP_2)
	v_pk_add_f16 v0, v19, v0
	v_perm_b32 v19, v73, v18, 0x5040100
	v_pk_add_f16 v0, v20, v0
	v_perm_b32 v20, v75, v17, 0x5040100
	;; [unrolled: 5-line block ×3, first 2 shown]
	s_delay_alu instid0(VALU_DEP_2)
	v_pk_add_f16 v0, v80, v0
	ds_store_2addr_b32 v37, v0, v1 offset0:169 offset1:170
	ds_store_2addr_b32 v37, v3, v2 offset0:171 offset1:172
	;; [unrolled: 1-line block ×6, first 2 shown]
	ds_store_b32 v37, v25 offset:724
.LBB0_7:
	s_wait_alu 0xfffe
	s_or_b32 exec_lo, exec_lo, s2
	v_add_nc_u16 v0, v58, 26
	v_add_nc_u16 v1, v58, 39
	;; [unrolled: 1-line block ×5, first 2 shown]
	v_and_b32_e32 v2, 0xff, v0
	v_lshlrev_b32_e32 v25, 2, v58
	v_and_b32_e32 v6, 0xff, v1
	v_and_b32_e32 v7, 0xff, v3
	v_and_b32_e32 v19, 0xff, v4
	v_and_b32_e32 v20, 0xff, v5
	v_mul_lo_u16 v2, 0x4f, v2
	global_wb scope:SCOPE_SE
	s_wait_dscnt 0x0
	s_barrier_signal -1
	s_barrier_wait -1
	global_inv scope:SCOPE_SE
	global_load_b32 v80, v25, s[0:1]
	v_mul_lo_u16 v6, 0x4f, v6
	v_mul_lo_u16 v7, 0x4f, v7
	;; [unrolled: 1-line block ×4, first 2 shown]
	v_lshrrev_b16 v2, 10, v2
	v_lshrrev_b16 v6, 10, v6
	;; [unrolled: 1-line block ×5, first 2 shown]
	v_mul_lo_u16 v2, v2, 13
	v_mul_lo_u16 v6, v6, 13
	;; [unrolled: 1-line block ×5, first 2 shown]
	v_sub_nc_u16 v0, v0, v2
	v_sub_nc_u16 v1, v1, v6
	v_sub_nc_u16 v2, v3, v7
	v_sub_nc_u16 v3, v4, v19
	v_sub_nc_u16 v4, v5, v20
	v_and_b32_e32 v0, 0xff, v0
	v_and_b32_e32 v1, 0xff, v1
	;; [unrolled: 1-line block ×5, first 2 shown]
	v_lshlrev_b32_e32 v30, 2, v0
	v_lshlrev_b32_e32 v31, 2, v1
	;; [unrolled: 1-line block ×5, first 2 shown]
	s_clause 0x4
	global_load_b32 v85, v30, s[0:1]
	global_load_b32 v84, v31, s[0:1]
	;; [unrolled: 1-line block ×5, first 2 shown]
	ds_load_2addr_b32 v[0:1], v41 offset1:13
	ds_load_2addr_b32 v[2:3], v41 offset0:78 offset1:91
	ds_load_2addr_b32 v[4:5], v41 offset0:104 offset1:117
	;; [unrolled: 1-line block ×6, first 2 shown]
	global_wb scope:SCOPE_SE
	s_wait_loadcnt_dscnt 0x0
	s_barrier_signal -1
	s_barrier_wait -1
	global_inv scope:SCOPE_SE
	v_mad_co_u64_u32 v[28:29], null, v58, 24, s[0:1]
	v_lshl_add_u32 v111, v98, 2, v9
	s_add_nc_u64 s[0:1], s[12:13], 0x2d8
	v_lshrrev_b32_e32 v35, 16, v0
	v_lshrrev_b32_e32 v36, 16, v3
	;; [unrolled: 1-line block ×15, first 2 shown]
	s_delay_alu instid0(VALU_DEP_1) | instskip(SKIP_3) | instid1(VALU_DEP_4)
	v_mul_f16_e32 v89, v36, v92
	v_mul_f16_e32 v90, v3, v92
	;; [unrolled: 1-line block ×4, first 2 shown]
	v_fma_f16 v3, v3, v80, -v89
	s_delay_alu instid0(VALU_DEP_4) | instskip(NEXT) | instid1(VALU_DEP_4)
	v_fmac_f16_e32 v90, v36, v80
	v_fma_f16 v4, v4, v80, -v91
	s_delay_alu instid0(VALU_DEP_4)
	v_fmac_f16_e32 v93, v87, v80
	v_add_nc_u32_e32 v87, v37, v30
	v_sub_f16_e32 v3, v0, v3
	v_sub_f16_e32 v36, v35, v90
	;; [unrolled: 1-line block ×4, first 2 shown]
	v_add_nc_u32_e32 v90, v37, v33
	v_fma_f16 v0, v0, 2.0, -v3
	v_fma_f16 v30, v35, 2.0, -v36
	;; [unrolled: 1-line block ×4, first 2 shown]
	v_pack_b32_f16 v3, v3, v36
	v_pack_b32_f16 v4, v4, v89
	;; [unrolled: 1-line block ×3, first 2 shown]
	v_lshrrev_b32_e32 v97, 16, v85
	v_pack_b32_f16 v1, v1, v35
	v_lshrrev_b32_e32 v96, 16, v84
	v_lshrrev_b32_e32 v95, 16, v83
	;; [unrolled: 1-line block ×4, first 2 shown]
	ds_store_2addr_b32 v41, v0, v3 offset1:13
	ds_store_2addr_b32 v41, v1, v4 offset0:26 offset1:39
	v_mul_f16_e32 v0, v100, v97
	v_mul_f16_e32 v1, v5, v97
	;; [unrolled: 1-line block ×4, first 2 shown]
	v_add_nc_u32_e32 v88, v37, v31
	v_mul_f16_e32 v30, v104, v95
	v_mul_f16_e32 v31, v20, v95
	v_add_nc_u32_e32 v89, v37, v32
	v_mul_f16_e32 v32, v106, v94
	v_mul_f16_e32 v33, v26, v94
	v_add_nc_u32_e32 v91, v37, v34
	v_mul_f16_e32 v34, v108, v93
	v_mul_f16_e32 v35, v27, v93
	v_fma_f16 v0, v5, v85, -v0
	v_fmac_f16_e32 v1, v100, v85
	v_fma_f16 v3, v19, v84, -v3
	v_fmac_f16_e32 v4, v102, v84
	;; [unrolled: 2-line block ×5, first 2 shown]
	v_sub_f16_e32 v0, v6, v0
	v_sub_f16_e32 v1, v99, v1
	;; [unrolled: 1-line block ×10, first 2 shown]
	v_fma_f16 v6, v6, 2.0, -v0
	v_fma_f16 v31, v99, 2.0, -v1
	;; [unrolled: 1-line block ×10, first 2 shown]
	v_pack_b32_f16 v0, v0, v1
	v_pack_b32_f16 v6, v6, v31
	;; [unrolled: 1-line block ×10, first 2 shown]
	ds_store_2addr_b32 v87, v6, v0 offset0:52 offset1:65
	ds_store_2addr_b32 v88, v7, v1 offset0:78 offset1:91
	;; [unrolled: 1-line block ×5, first 2 shown]
	global_wb scope:SCOPE_SE
	s_wait_dscnt 0x0
	s_barrier_signal -1
	s_barrier_wait -1
	global_inv scope:SCOPE_SE
	s_clause 0x3
	global_load_b128 v[4:7], v[28:29], off offset:52
	global_load_b64 v[19:20], v[28:29], off offset:68
	global_load_b128 v[0:3], v[28:29], off offset:364
	global_load_b64 v[21:22], v[28:29], off offset:380
	ds_load_2addr_b32 v[26:27], v41 offset1:13
	ds_load_2addr_b32 v[28:29], v41 offset0:26 offset1:39
	ds_load_2addr_b32 v[30:31], v41 offset0:52 offset1:65
	;; [unrolled: 1-line block ×6, first 2 shown]
	s_wait_dscnt 0x6
	v_lshrrev_b32_e32 v9, 16, v26
	s_wait_dscnt 0x5
	v_lshrrev_b32_e32 v36, 16, v28
	;; [unrolled: 2-line block ×7, first 2 shown]
	v_lshrrev_b32_e32 v121, 16, v29
	v_lshrrev_b32_e32 v122, 16, v31
	v_lshrrev_b32_e32 v125, 16, v113
	v_lshrrev_b32_e32 v126, 16, v115
	v_lshrrev_b32_e32 v123, 16, v33
	v_lshrrev_b32_e32 v124, 16, v35
	v_lshrrev_b32_e32 v120, 16, v27
	s_wait_loadcnt 0x3
	v_lshrrev_b32_e32 v109, 16, v4
	v_lshrrev_b32_e32 v108, 16, v5
	s_wait_loadcnt 0x2
	v_lshrrev_b32_e32 v105, 16, v19
	v_lshrrev_b32_e32 v104, 16, v20
	;; [unrolled: 1-line block ×4, first 2 shown]
	s_wait_loadcnt 0x1
	v_lshrrev_b32_e32 v103, 16, v0
	v_lshrrev_b32_e32 v102, 16, v1
	s_wait_loadcnt 0x0
	v_lshrrev_b32_e32 v99, 16, v21
	v_lshrrev_b32_e32 v98, 16, v22
	;; [unrolled: 1-line block ×4, first 2 shown]
	v_mul_f16_e32 v127, v36, v109
	v_mul_f16_e64 v128, v28, v109
	v_mul_f16_e64 v129, v110, v108
	;; [unrolled: 1-line block ×21, first 2 shown]
	v_fma_f16 v28, v28, v4, -v127
	v_fmac_f16_e64 v128, v36, v4
	v_fma_f16 v30, v30, v5, -v129
	v_fmac_f16_e64 v130, v110, v5
	;; [unrolled: 2-line block ×4, first 2 shown]
	v_mul_f16_e64 v144, v33, v101
	v_mul_f16_e64 v146, v35, v100
	v_fma_f16 v32, v32, v6, -v131
	v_fmac_f16_e64 v132, v116, v6
	v_fma_f16 v34, v34, v7, -v133
	v_fmac_f16_e64 v134, v117, v7
	;; [unrolled: 2-line block ×6, first 2 shown]
	v_fma_f16 v33, v33, v2, -v143
	v_fma_f16 v35, v35, v3, -v145
	v_add_f16_e32 v114, v28, v110
	v_add_f16_e64 v115, v128, v138
	v_add_f16_e32 v116, v30, v36
	v_add_f16_e64 v117, v130, v136
	v_fmac_f16_e64 v144, v123, v2
	v_fmac_f16_e64 v146, v124, v3
	v_sub_f16_e32 v28, v28, v110
	v_sub_f16_e64 v110, v128, v138
	v_sub_f16_e32 v30, v30, v36
	v_sub_f16_e64 v36, v130, v136
	v_add_f16_e32 v118, v32, v34
	v_add_f16_e64 v119, v132, v134
	v_sub_f16_e32 v32, v34, v32
	v_sub_f16_e64 v34, v134, v132
	v_add_f16_e32 v121, v29, v113
	v_add_f16_e64 v122, v140, v150
	v_add_f16_e32 v123, v31, v112
	v_add_f16_e64 v124, v142, v148
	v_sub_f16_e32 v29, v29, v113
	v_sub_f16_e32 v31, v31, v112
	v_add_f16_e32 v125, v33, v35
	v_sub_f16_e32 v33, v35, v33
	v_add_f16_e32 v127, v116, v114
	v_add_f16_e64 v128, v117, v115
	v_sub_f16_e64 v113, v140, v150
	v_sub_f16_e64 v112, v142, v148
	;; [unrolled: 1-line block ×3, first 2 shown]
	v_add_f16_e64 v126, v144, v146
	v_sub_f16_e64 v129, v116, v114
	v_sub_f16_e64 v130, v117, v115
	v_sub_f16_e32 v114, v114, v118
	v_sub_f16_e32 v115, v115, v119
	;; [unrolled: 1-line block ×4, first 2 shown]
	v_add_f16_e64 v131, v32, v30
	v_add_f16_e64 v132, v34, v36
	v_sub_f16_e64 v133, v32, v30
	v_sub_f16_e64 v134, v34, v36
	v_sub_f16_e32 v30, v30, v28
	v_sub_f16_e32 v36, v36, v110
	v_add_f16_e64 v135, v123, v121
	v_add_f16_e64 v136, v124, v122
	;; [unrolled: 1-line block ×3, first 2 shown]
	v_sub_f16_e64 v141, v33, v31
	v_sub_f16_e32 v31, v31, v29
	v_add_f16_e32 v118, v118, v127
	v_add_f16_e64 v119, v119, v128
	v_add_f16_e64 v140, v35, v112
	v_sub_f16_e64 v142, v35, v112
	v_sub_f16_e32 v112, v112, v113
	v_sub_f16_e32 v32, v28, v32
	;; [unrolled: 1-line block ×3, first 2 shown]
	v_sub_f16_e64 v137, v123, v121
	v_sub_f16_e64 v138, v124, v122
	v_sub_f16_e32 v121, v121, v125
	v_sub_f16_e32 v122, v122, v126
	;; [unrolled: 1-line block ×4, first 2 shown]
	v_add_f16_e64 v28, v131, v28
	v_add_f16_e64 v110, v132, v110
	v_mul_f16_e32 v114, 0x3a52, v114
	v_mul_f16_e32 v115, 0x3a52, v115
	v_mul_f16_e32 v127, 0x2b26, v116
	v_mul_f16_e64 v128, 0x2b26, v117
	v_mul_f16_e64 v131, 0xb846, v133
	;; [unrolled: 1-line block ×5, first 2 shown]
	v_add_f16_e64 v125, v125, v135
	v_add_f16_e64 v126, v126, v136
	v_sub_f16_e32 v33, v29, v33
	v_add_f16_e64 v29, v139, v29
	v_mul_f16_e64 v139, 0xb846, v141
	v_mul_f16_e64 v141, 0x3b00, v31
	v_add_f16_e32 v26, v26, v118
	v_add_f16_e32 v9, v9, v119
	v_sub_f16_e32 v35, v113, v35
	v_add_f16_e64 v113, v140, v113
	v_mul_f16_e64 v140, 0xb846, v142
	v_mul_f16_e64 v142, 0x3b00, v112
	v_mul_f16_e32 v121, 0x3a52, v121
	v_mul_f16_e32 v122, 0x3a52, v122
	v_mul_f16_e64 v135, 0x2b26, v123
	v_mul_f16_e64 v136, 0x2b26, v124
	v_fmamk_f16 v116, v116, 0x2b26, v114
	v_fmamk_f16 v117, v117, 0x2b26, v115
	v_fma_f16 v127, v129, 0x39e0, -v127
	v_fma_f16 v128, v130, 0x39e0, -v128
	v_fma_f16 v114, v129, 0xb9e0, -v114
	v_fma_f16 v115, v130, 0xb9e0, -v115
	v_fma_f16 v129, 0x3574, v32, v131
	v_fma_f16 v130, 0x3574, v34, v132
	v_fma_f16 v30, v30, 0x3b00, -v131
	v_fma_f16 v36, v36, 0x3b00, -v132
	;; [unrolled: 1-line block ×4, first 2 shown]
	v_add_f16_e32 v27, v27, v125
	v_add_f16_e32 v120, v120, v126
	v_fma_f16 v133, 0x3574, v33, v139
	v_fma_f16 v31, v31, 0x3b00, -v139
	v_fma_f16 v33, v33, 0xb574, -v141
	v_fmamk_f16 v118, v118, 0xbcab, v26
	v_fmamk_f16 v119, v119, 0xbcab, v9
	v_fma_f16 v134, 0x3574, v35, v140
	v_fma_f16 v112, v112, 0x3b00, -v140
	v_fma_f16 v35, v35, 0xb574, -v142
	v_fmamk_f16 v123, v123, 0x2b26, v121
	v_fmamk_f16 v124, v124, 0x2b26, v122
	v_fma_f16 v131, v137, 0x39e0, -v135
	v_fma_f16 v132, v138, 0x39e0, -v136
	;; [unrolled: 1-line block ×4, first 2 shown]
	v_fmac_f16_e64 v129, 0x370e, v28
	v_fmac_f16_e64 v130, 0x370e, v110
	v_fmac_f16_e32 v30, 0x370e, v28
	v_fmac_f16_e32 v36, 0x370e, v110
	;; [unrolled: 1-line block ×4, first 2 shown]
	v_fmamk_f16 v28, v125, 0xbcab, v27
	v_fmamk_f16 v110, v126, 0xbcab, v120
	v_fmac_f16_e64 v133, 0x370e, v29
	v_fmac_f16_e32 v31, 0x370e, v29
	v_fmac_f16_e32 v33, 0x370e, v29
	v_pack_b32_f16 v26, v26, v9
	v_add_f16_e32 v9, v116, v118
	v_add_f16_e32 v29, v117, v119
	;; [unrolled: 1-line block ×4, first 2 shown]
	v_fmac_f16_e64 v134, 0x370e, v113
	v_fmac_f16_e32 v112, 0x370e, v113
	v_fmac_f16_e32 v35, 0x370e, v113
	v_add_f16_e32 v113, v127, v118
	v_add_f16_e64 v116, v128, v119
	v_pack_b32_f16 v27, v27, v120
	v_add_f16_e32 v117, v123, v28
	v_add_f16_e32 v118, v124, v110
	v_add_f16_e64 v119, v131, v28
	v_add_f16_e64 v120, v132, v110
	v_add_f16_e32 v28, v121, v28
	v_add_f16_e32 v110, v122, v110
	v_add_f16_e64 v121, v130, v9
	v_sub_f16_e64 v122, v29, v129
	v_add_f16_e32 v123, v34, v114
	v_sub_f16_e32 v124, v115, v32
	v_sub_f16_e32 v125, v113, v36
	v_add_f16_e32 v126, v30, v116
	v_add_f16_e32 v36, v36, v113
	v_sub_f16_e32 v30, v116, v30
	v_sub_f16_e32 v34, v114, v34
	v_add_f16_e32 v32, v32, v115
	v_sub_f16_e64 v113, v9, v130
	v_add_f16_e64 v29, v129, v29
	v_add_f16_e64 v114, v134, v117
	v_sub_f16_e64 v115, v118, v133
	v_add_f16_e32 v116, v35, v28
	v_sub_f16_e32 v127, v110, v33
	v_sub_f16_e64 v128, v119, v112
	v_add_f16_e64 v129, v31, v120
	v_add_f16_e32 v112, v112, v119
	v_sub_f16_e32 v31, v120, v31
	v_sub_f16_e32 v28, v28, v35
	v_add_f16_e32 v33, v33, v110
	v_sub_f16_e64 v9, v117, v134
	v_add_f16_e64 v110, v133, v118
	v_pack_b32_f16 v35, v121, v122
	v_pack_b32_f16 v117, v123, v124
	;; [unrolled: 1-line block ×12, first 2 shown]
	ds_store_2addr_b32 v41, v35, v117 offset0:26 offset1:52
	ds_store_2addr_b32 v41, v118, v30 offset0:78 offset1:104
	;; [unrolled: 1-line block ×3, first 2 shown]
	ds_store_2addr_b32 v41, v26, v27 offset1:13
	ds_store_2addr_b32 v111, v34, v36 offset0:39 offset1:65
	ds_store_2addr_b32 v111, v113, v31 offset0:91 offset1:117
	;; [unrolled: 1-line block ×3, first 2 shown]
	global_wb scope:SCOPE_SE
	s_wait_dscnt 0x0
	s_barrier_signal -1
	s_barrier_wait -1
	global_inv scope:SCOPE_SE
	s_clause 0xc
	global_load_b32 v35, v[23:24], off offset:728
	global_load_b32 v36, v25, s[0:1] offset:56
	global_load_b32 v112, v25, s[0:1] offset:112
	;; [unrolled: 1-line block ×12, first 2 shown]
	ds_load_2addr_b32 v[23:24], v41 offset1:14
	ds_load_2addr_b32 v[25:26], v41 offset0:28 offset1:42
	ds_load_2addr_b32 v[27:28], v41 offset0:56 offset1:70
	;; [unrolled: 1-line block ×5, first 2 shown]
	ds_load_b32 v123, v41 offset:672
	s_wait_dscnt 0x6
	v_lshrrev_b32_e32 v124, 16, v23
	v_lshrrev_b32_e32 v125, 16, v24
	s_wait_dscnt 0x5
	v_lshrrev_b32_e32 v126, 16, v25
	v_lshrrev_b32_e32 v127, 16, v26
	;; [unrolled: 3-line block ×6, first 2 shown]
	s_wait_dscnt 0x0
	v_lshrrev_b32_e32 v136, 16, v123
	s_wait_loadcnt 0xc
	v_lshrrev_b32_e32 v137, 16, v35
	s_wait_loadcnt 0xb
	;; [unrolled: 2-line block ×13, first 2 shown]
	v_lshrrev_b32_e32 v149, 16, v122
	v_mul_f16_e64 v150, v124, v137
	v_mul_f16_e64 v137, v23, v137
	;; [unrolled: 1-line block ×26, first 2 shown]
	v_fma_f16 v23, v23, v35, -v150
	v_fmac_f16_e64 v137, v124, v35
	v_fma_f16 v24, v24, v36, -v151
	v_fmac_f16_e64 v138, v125, v36
	;; [unrolled: 2-line block ×13, first 2 shown]
	v_pack_b32_f16 v23, v23, v137
	v_pack_b32_f16 v24, v24, v138
	;; [unrolled: 1-line block ×13, first 2 shown]
	ds_store_2addr_b32 v41, v23, v24 offset1:14
	ds_store_2addr_b32 v41, v25, v26 offset0:28 offset1:42
	ds_store_2addr_b32 v41, v27, v28 offset0:56 offset1:70
	;; [unrolled: 1-line block ×5, first 2 shown]
	ds_store_b32 v41, v35 offset:672
	s_and_saveexec_b32 s0, vcc_lo
	s_cbranch_execz .LBB0_9
; %bb.8:
	v_mov_b32_e32 v23, 0
	s_clause 0xc
	global_load_b32 v35, v23, s[12:13] offset:780
	global_load_b32 v36, v23, s[12:13] offset:836
	;; [unrolled: 1-line block ×13, first 2 shown]
	ds_load_2addr_b32 v[23:24], v37 offset0:13 offset1:27
	ds_load_2addr_b32 v[25:26], v37 offset0:41 offset1:55
	;; [unrolled: 1-line block ×6, first 2 shown]
	ds_load_b32 v123, v37 offset:724
	s_wait_dscnt 0x6
	v_lshrrev_b32_e32 v124, 16, v23
	v_lshrrev_b32_e32 v125, 16, v24
	s_wait_dscnt 0x5
	v_lshrrev_b32_e32 v126, 16, v25
	v_lshrrev_b32_e32 v127, 16, v26
	;; [unrolled: 3-line block ×6, first 2 shown]
	s_wait_dscnt 0x0
	v_lshrrev_b32_e32 v136, 16, v123
	s_wait_loadcnt 0xc
	v_lshrrev_b32_e32 v137, 16, v35
	s_wait_loadcnt 0xb
	;; [unrolled: 2-line block ×13, first 2 shown]
	v_lshrrev_b32_e32 v149, 16, v122
	v_mul_f16_e64 v150, v124, v137
	v_mul_f16_e64 v137, v23, v137
	;; [unrolled: 1-line block ×26, first 2 shown]
	v_fma_f16 v23, v23, v35, -v150
	v_fmac_f16_e64 v137, v124, v35
	v_fma_f16 v24, v24, v36, -v151
	v_fmac_f16_e64 v138, v125, v36
	;; [unrolled: 2-line block ×13, first 2 shown]
	v_pack_b32_f16 v23, v23, v137
	v_pack_b32_f16 v24, v24, v138
	;; [unrolled: 1-line block ×13, first 2 shown]
	ds_store_2addr_b32 v37, v23, v24 offset0:13 offset1:27
	ds_store_2addr_b32 v37, v25, v26 offset0:41 offset1:55
	;; [unrolled: 1-line block ×6, first 2 shown]
	ds_store_b32 v37, v35 offset:724
.LBB0_9:
	s_wait_alu 0xfffe
	s_or_b32 exec_lo, exec_lo, s0
	global_wb scope:SCOPE_SE
	s_wait_dscnt 0x0
	s_barrier_signal -1
	s_barrier_wait -1
	global_inv scope:SCOPE_SE
	ds_load_2addr_b32 v[25:26], v41 offset1:14
	ds_load_2addr_b32 v[33:34], v41 offset0:28 offset1:42
	ds_load_2addr_b32 v[29:30], v41 offset0:56 offset1:70
	;; [unrolled: 1-line block ×5, first 2 shown]
	ds_load_b32 v112, v41 offset:672
	v_lshrrev_b32_e32 v24, 16, v78
	s_and_saveexec_b32 s0, vcc_lo
	s_cbranch_execz .LBB0_11
; %bb.10:
	ds_load_2addr_b32 v[9:10], v37 offset0:13 offset1:27
	ds_load_2addr_b32 v[13:14], v37 offset0:41 offset1:55
	;; [unrolled: 1-line block ×6, first 2 shown]
	ds_load_b32 v67, v37 offset:724
	s_wait_dscnt 0x6
	v_lshrrev_b32_e32 v110, 16, v9
	v_lshrrev_b32_e32 v72, 16, v10
	s_wait_dscnt 0x5
	v_lshrrev_b32_e32 v71, 16, v13
	v_lshrrev_b32_e32 v70, 16, v14
	;; [unrolled: 3-line block ×6, first 2 shown]
	s_wait_dscnt 0x0
	v_bfi_b32 v79, 0xffff, v23, v67
.LBB0_11:
	s_wait_alu 0xfffe
	s_or_b32 exec_lo, exec_lo, s0
	s_wait_dscnt 0x6
	v_pk_add_f16 v114, v25, v26
	v_add_nc_u32_e32 v23, 52, v111
	s_wait_dscnt 0x0
	v_pk_add_f16 v113, v26, v112 neg_lo:[0,1] neg_hi:[0,1]
	v_lshrrev_b32_e32 v116, 16, v25
	global_wb scope:SCOPE_SE
	v_pk_add_f16 v111, v114, v33
	v_pk_add_f16 v114, v112, v26
	v_lshrrev_b32_e32 v117, 16, v113
	v_pk_mul_f16 v115, 0xb770, v113 op_sel_hi:[0,1]
	s_barrier_signal -1
	v_pk_add_f16 v111, v111, v34
	v_lshrrev_b32_e32 v118, 16, v114
	v_mul_f16_e32 v123, 0xbb7b, v117
	v_pk_fma_f16 v26, 0x3b15, v114, v115 op_sel:[0,0,1] op_sel_hi:[0,1,0]
	v_mul_f16_e32 v121, 0xbbf1, v117
	v_pk_add_f16 v119, v111, v29
	v_pk_fma_f16 v111, 0x3b15, v114, v115 op_sel:[0,0,1] op_sel_hi:[0,1,0] neg_lo:[0,0,1] neg_hi:[0,0,1]
	v_fma_f16 v130, 0xb5ac, v114, v123
	v_fma_f16 v123, v114, 0xb5ac, -v123
	v_mul_f16_e32 v115, 0xba95, v117
	v_pk_add_f16 v119, v119, v30
	v_mul_f16_e32 v120, 0x388b, v118
	v_mul_f16_e32 v122, 0x2fb7, v118
	;; [unrolled: 1-line block ×4, first 2 shown]
	v_pk_add_f16 v119, v119, v27
	v_bfi_b32 v125, 0xffff, v26, v111
	v_fmamk_f16 v126, v114, 0x388b, v115
	v_fmamk_f16 v127, v113, 0x3a95, v120
	v_fma_f16 v115, v114, 0x388b, -v115
	v_pk_add_f16 v119, v119, v28
	v_fmac_f16_e32 v120, 0xba95, v113
	v_fma_f16 v129, 0x3bf1, v113, v122
	v_fmac_f16_e32 v122, 0xbbf1, v113
	v_fma_f16 v131, 0x3b7b, v113, v124
	v_pk_add_f16 v119, v119, v31
	v_pk_add_f16 v125, v25, v125
	v_fmac_f16_e32 v124, 0xbb7b, v113
	v_fma_f16 v133, 0x394e, v113, v118
	v_fmac_f16_e32 v118, 0xb94e, v113
	v_pk_add_f16 v119, v119, v32
	v_fma_f16 v128, 0x2fb7, v114, v121
	v_fma_f16 v121, v114, 0x2fb7, -v121
	v_add_f16_e32 v126, v25, v126
	v_add_f16_e32 v127, v116, v127
	v_pk_add_f16 v119, v119, v35
	v_add_f16_e32 v115, v25, v115
	v_add_f16_e32 v120, v116, v120
	v_add_f16_e64 v129, v116, v129
	v_add_f16_e32 v122, v116, v122
	v_pk_add_f16 v119, v119, v36
	v_add_f16_e64 v131, v116, v131
	v_add_f16_e32 v124, v116, v124
	v_add_f16_e64 v133, v116, v133
	v_add_f16_e32 v116, v116, v118
	v_pk_add_f16 v112, v119, v112
	v_add_f16_e32 v119, v25, v123
	v_pk_add_f16 v123, v33, v36 neg_lo:[0,1] neg_hi:[0,1]
	v_pk_add_f16 v33, v36, v33
	v_mul_f16_e32 v117, 0xb94e, v117
	v_add_f16_e32 v121, v25, v121
	v_add_f16_e64 v128, v25, v128
	v_pk_mul_f16 v36, 0xba95, v123 op_sel_hi:[0,1]
	v_lshrrev_b32_e32 v134, 16, v123
	v_lshrrev_b32_e32 v137, 16, v33
	v_add_f16_e64 v130, v25, v130
	v_fma_f16 v132, 0xb9fd, v114, v117
	v_pk_fma_f16 v135, 0x388b, v33, v36 op_sel:[0,0,1] op_sel_hi:[0,1,0]
	v_pk_fma_f16 v36, 0x388b, v33, v36 op_sel:[0,0,1] op_sel_hi:[0,1,0] neg_lo:[0,0,1] neg_hi:[0,0,1]
	v_mul_f16_e64 v136, 0xbb7b, v134
	v_mul_f16_e64 v140, 0xb5ac, v137
	v_mul_f16_e64 v141, 0xbbc4, v137
	v_add_f16_e64 v132, v25, v132
	v_bfi_b32 v138, 0xffff, v135, v36
	v_fma_f16 v139, 0xb5ac, v33, v136
	v_fma_f16 v136, v33, 0xb5ac, -v136
	v_fma_f16 v117, v114, 0xb9fd, -v117
	v_pk_mul_f16 v114, 0xbbc4, v114 op_sel_hi:[0,1]
	v_pk_add_f16 v118, v138, v125
	v_mul_f16_e64 v125, 0xb3a8, v134
	v_fma_f16 v138, 0x3b7b, v123, v140
	v_add_f16_e64 v126, v139, v126
	v_add_f16_e64 v115, v136, v115
	v_fma_f16 v136, 0x33a8, v123, v141
	v_fma_f16 v139, 0xbbc4, v33, v125
	v_add_f16_e64 v127, v138, v127
	v_mul_f16_e64 v138, 0x394e, v134
	v_fma_f16 v125, v33, 0xbbc4, -v125
	v_add_f16_e64 v129, v136, v129
	v_mul_f16_e64 v134, 0x3bf1, v134
	v_fmac_f16_e64 v140, 0xbb7b, v123
	v_fma_f16 v136, 0xb9fd, v33, v138
	v_add_f16_e32 v121, v125, v121
	v_fma_f16 v125, v33, 0xb9fd, -v138
	v_add_f16_e64 v128, v139, v128
	v_mul_f16_e64 v139, 0xb9fd, v137
	v_add_f16_e64 v130, v136, v130
	v_mul_f16_e64 v136, 0x2fb7, v137
	v_add_f16_e32 v119, v125, v119
	v_pk_add_f16 v125, v34, v35 neg_lo:[0,1] neg_hi:[0,1]
	v_fma_f16 v137, 0x2fb7, v33, v134
	v_add_f16_e64 v120, v140, v120
	v_fma_f16 v140, 0xb94e, v123, v139
	v_fmac_f16_e64 v139, 0x394e, v123
	v_pk_add_f16 v34, v35, v34
	v_add_f16_e64 v132, v137, v132
	v_lshrrev_b32_e32 v137, 16, v125
	v_add_f16_e32 v117, v25, v117
	v_add_f16_e64 v131, v140, v131
	v_add_f16_e64 v124, v139, v124
	v_fma_f16 v134, v33, 0x2fb7, -v134
	v_mul_f16_e64 v139, 0xb3a8, v137
	v_lshrrev_b32_e32 v140, 16, v34
	v_fma_f16 v138, 0xbbf1, v123, v136
	v_pk_mul_f16 v35, 0xbbf1, v125 op_sel_hi:[0,1]
	v_add_f16_e64 v117, v134, v117
	v_fma_f16 v134, 0xbbc4, v34, v139
	v_mul_f16_e64 v142, 0xbbc4, v140
	v_fmac_f16_e64 v141, 0xb3a8, v123
	v_add_f16_e64 v133, v138, v133
	v_pk_fma_f16 v138, 0x2fb7, v34, v35 op_sel:[0,0,1] op_sel_hi:[0,1,0]
	v_pk_fma_f16 v35, 0x2fb7, v34, v35 op_sel:[0,0,1] op_sel_hi:[0,1,0] neg_lo:[0,0,1] neg_hi:[0,0,1]
	v_fmac_f16_e64 v136, 0x3bf1, v123
	v_add_f16_e64 v126, v134, v126
	v_fma_f16 v134, 0x33a8, v125, v142
	v_fma_f16 v139, v34, 0xbbc4, -v139
	v_mul_f16_e64 v143, 0xb5ac, v140
	v_add_f16_e64 v122, v141, v122
	v_bfi_b32 v141, 0xffff, v138, v35
	v_add_f16_e64 v116, v136, v116
	v_mul_f16_e64 v136, 0x3b7b, v137
	v_add_f16_e64 v127, v134, v127
	v_add_f16_e64 v115, v139, v115
	v_fma_f16 v134, 0xbb7b, v125, v143
	v_mul_f16_e64 v139, 0x3770, v137
	v_pk_add_f16 v118, v141, v118
	v_fma_f16 v141, 0xb5ac, v34, v136
	v_fma_f16 v136, v34, 0xb5ac, -v136
	v_add_f16_e64 v129, v134, v129
	v_fma_f16 v134, 0x3b15, v34, v139
	v_fmac_f16_e64 v142, 0xb3a8, v125
	v_add_f16_e64 v128, v141, v128
	v_add_f16_e64 v121, v136, v121
	v_fma_f16 v136, v34, 0x3b15, -v139
	v_add_f16_e64 v130, v134, v130
	v_mul_f16_e64 v134, 0xba95, v137
	v_mul_f16_e64 v141, 0x3b15, v140
	v_add_f16_e64 v120, v142, v120
	v_add_f16_e64 v119, v136, v119
	v_pk_add_f16 v136, v29, v32 neg_lo:[0,1] neg_hi:[0,1]
	v_fma_f16 v139, 0x388b, v34, v134
	v_fma_f16 v142, 0xb770, v125, v141
	v_fmac_f16_e64 v141, 0x3770, v125
	v_pk_add_f16 v29, v32, v29
	v_mul_f16_e64 v137, 0x388b, v140
	v_add_f16_e64 v132, v139, v132
	v_lshrrev_b32_e32 v139, 16, v136
	v_add_f16_e64 v131, v142, v131
	v_add_f16_e64 v124, v141, v124
	v_fma_f16 v134, v34, 0x388b, -v134
	v_lshrrev_b32_e32 v142, 16, v29
	v_mul_f16_e64 v141, 0x394e, v139
	v_fma_f16 v140, 0x3a95, v125, v137
	v_pk_mul_f16 v32, 0xbb7b, v136 op_sel_hi:[0,1]
	v_add_f16_e64 v117, v134, v117
	v_mul_f16_e64 v144, 0xb9fd, v142
	v_fma_f16 v134, 0xb9fd, v29, v141
	v_fmac_f16_e64 v143, 0x3b7b, v125
	v_add_f16_e64 v133, v140, v133
	v_pk_fma_f16 v140, 0xb5ac, v29, v32 op_sel:[0,0,1] op_sel_hi:[0,1,0]
	v_pk_fma_f16 v32, 0xb5ac, v29, v32 op_sel:[0,0,1] op_sel_hi:[0,1,0] neg_lo:[0,0,1] neg_hi:[0,0,1]
	v_fmac_f16_e64 v137, 0xba95, v125
	v_add_f16_e64 v126, v134, v126
	v_fma_f16 v134, 0xb94e, v136, v144
	v_fma_f16 v141, v29, 0xb9fd, -v141
	v_mul_f16_e64 v145, 0x3b15, v142
	v_add_f16_e64 v122, v143, v122
	v_bfi_b32 v143, 0xffff, v140, v32
	v_add_f16_e64 v116, v137, v116
	v_mul_f16_e64 v137, 0x3770, v139
	v_add_f16_e64 v127, v134, v127
	v_add_f16_e64 v115, v141, v115
	v_fma_f16 v134, 0xb770, v136, v145
	v_mul_f16_e64 v141, 0xbbf1, v139
	v_pk_add_f16 v118, v143, v118
	v_fma_f16 v143, 0x3b15, v29, v137
	v_fma_f16 v137, v29, 0x3b15, -v137
	v_add_f16_e64 v129, v134, v129
	v_fma_f16 v134, 0x2fb7, v29, v141
	v_fmac_f16_e64 v144, 0x394e, v136
	v_add_f16_e64 v128, v143, v128
	v_add_f16_e64 v121, v137, v121
	v_fma_f16 v137, v29, 0x2fb7, -v141
	v_add_f16_e64 v130, v134, v130
	v_mul_f16_e64 v134, 0x33a8, v139
	v_mul_f16_e64 v143, 0x2fb7, v142
	v_add_f16_e64 v120, v144, v120
	v_add_f16_e64 v119, v137, v119
	v_pk_add_f16 v137, v30, v31 neg_lo:[0,1] neg_hi:[0,1]
	v_fma_f16 v141, 0xbbc4, v29, v134
	v_fma_f16 v144, 0x3bf1, v136, v143
	v_mul_f16_e64 v139, 0xbbc4, v142
	v_fmac_f16_e64 v143, 0xbbf1, v136
	v_pk_add_f16 v30, v31, v30
	v_add_f16_e64 v132, v141, v132
	v_lshrrev_b32_e32 v141, 16, v137
	v_add_f16_e64 v131, v144, v131
	v_fma_f16 v142, 0xb3a8, v136, v139
	v_pk_mul_f16 v31, 0xb94e, v137 op_sel_hi:[0,1]
	v_add_f16_e64 v124, v143, v124
	v_fma_f16 v134, v29, 0xbbc4, -v134
	v_mul_f16_e64 v143, 0x3bf1, v141
	v_lshrrev_b32_e32 v144, 16, v30
	v_fmac_f16_e64 v145, 0x3770, v136
	v_add_f16_e64 v133, v142, v133
	v_pk_fma_f16 v142, 0xb9fd, v30, v31 op_sel:[0,0,1] op_sel_hi:[0,1,0]
	v_pk_fma_f16 v31, 0xb9fd, v30, v31 op_sel:[0,0,1] op_sel_hi:[0,1,0] neg_lo:[0,0,1] neg_hi:[0,0,1]
	v_fmac_f16_e64 v139, 0x33a8, v136
	v_add_f16_e64 v117, v134, v117
	v_fma_f16 v134, 0x2fb7, v30, v143
	v_mul_f16_e64 v146, 0x2fb7, v144
	v_add_f16_e64 v122, v145, v122
	v_bfi_b32 v145, 0xffff, v142, v31
	v_add_f16_e64 v116, v139, v116
	v_mul_f16_e64 v139, 0xba95, v141
	v_add_f16_e64 v126, v134, v126
	v_fma_f16 v134, 0xbbf1, v137, v146
	v_fma_f16 v143, v30, 0x2fb7, -v143
	v_mul_f16_e64 v147, 0x388b, v144
	v_pk_add_f16 v118, v145, v118
	v_fma_f16 v145, 0x388b, v30, v139
	v_add_f16_e64 v127, v134, v127
	v_add_f16_e64 v115, v143, v115
	v_fma_f16 v134, 0x3a95, v137, v147
	v_mul_f16_e64 v143, 0x33a8, v141
	v_fma_f16 v139, v30, 0x388b, -v139
	v_fmac_f16_e64 v146, 0x3bf1, v137
	v_add_f16_e64 v128, v145, v128
	v_add_f16_e64 v129, v134, v129
	v_fma_f16 v134, 0xbbc4, v30, v143
	v_add_f16_e64 v121, v139, v121
	v_fma_f16 v139, v30, 0xbbc4, -v143
	v_mul_f16_e64 v145, 0xbbc4, v144
	v_add_f16_e64 v120, v146, v120
	v_add_f16_e64 v130, v134, v130
	v_mul_f16_e64 v134, 0x3770, v141
	v_mul_f16_e64 v141, 0x3b15, v144
	v_add_f16_e64 v119, v139, v119
	v_pk_add_f16 v139, v27, v28 neg_lo:[0,1] neg_hi:[0,1]
	v_fma_f16 v146, 0xb3a8, v137, v145
	v_fmac_f16_e64 v145, 0x33a8, v137
	v_fma_f16 v143, 0x3b15, v30, v134
	v_fma_f16 v144, 0xb770, v137, v141
	v_pk_add_f16 v27, v28, v27
	v_pk_mul_f16 v28, 0xb3a8, v139 op_sel_hi:[0,1]
	v_fmac_f16_e64 v147, 0xba95, v137
	v_add_f16_e64 v124, v145, v124
	v_add_f16_e64 v132, v143, v132
	;; [unrolled: 1-line block ×3, first 2 shown]
	v_lshrrev_b32_e32 v143, 16, v139
	v_pk_fma_f16 v144, 0xbbc4, v27, v28 op_sel:[0,0,1] op_sel_hi:[0,1,0]
	v_pk_fma_f16 v28, 0xbbc4, v27, v28 op_sel:[0,0,1] op_sel_hi:[0,1,0] neg_lo:[0,0,1] neg_hi:[0,0,1]
	v_fma_f16 v134, v30, 0x3b15, -v134
	v_lshrrev_b32_e32 v145, 16, v27
	v_add_f16_e64 v122, v147, v122
	v_add_f16_e64 v131, v146, v131
	v_mul_f16_e64 v146, 0x3770, v143
	v_fmac_f16_e64 v141, 0x3770, v137
	v_bfi_b32 v147, 0xffff, v144, v28
	v_add_f16_e64 v117, v134, v117
	v_mul_f16_e64 v134, 0x3b15, v145
	v_fma_f16 v148, 0x3b15, v27, v146
	v_add_f16_e64 v116, v141, v116
	v_pk_add_f16 v118, v147, v118
	v_mul_f16_e64 v141, 0xb94e, v143
	v_fma_f16 v147, 0xb770, v139, v134
	v_fmac_f16_e64 v134, 0x3770, v139
	v_add_f16_e64 v126, v148, v126
	v_fma_f16 v146, v27, 0x3b15, -v146
	v_fma_f16 v148, 0xb9fd, v27, v141
	v_fma_f16 v141, v27, 0xb9fd, -v141
	v_add_f16_e64 v120, v134, v120
	v_mul_f16_e64 v134, 0x3a95, v143
	v_mul_f16_e64 v143, 0xbb7b, v143
	v_add_f16_e64 v128, v148, v128
	v_mul_f16_e64 v148, 0x388b, v145
	v_add_f16_e64 v127, v147, v127
	v_fma_f16 v149, 0x388b, v27, v134
	v_fma_f16 v134, v27, 0x388b, -v134
	v_mul_f16_e64 v147, 0xb9fd, v145
	v_add_f16_e64 v121, v141, v121
	v_fma_f16 v141, 0xba95, v139, v148
	v_add_f16_e64 v115, v146, v115
	v_add_f16_e64 v119, v134, v119
	v_fma_f16 v134, 0xb5ac, v27, v143
	v_fma_f16 v146, 0x394e, v139, v147
	v_add_f16_e64 v131, v141, v131
	v_mul_f16_e64 v141, 0xb5ac, v145
	v_fma_f16 v143, v27, 0xb5ac, -v143
	v_add_f16_e64 v132, v134, v132
	v_pk_fma_f16 v134, 0xb3a8, v113, v114 op_sel:[0,0,1] op_sel_hi:[0,1,0]
	v_pk_mul_f16 v33, 0x3b15, v33 op_sel_hi:[0,1]
	v_add_f16_e64 v129, v146, v129
	v_fma_f16 v145, 0x3b7b, v139, v141
	v_fmac_f16_e64 v141, 0xbb7b, v139
	v_add_f16_e64 v117, v143, v117
	v_alignbit_b32 v143, s0, v134, 16
	v_pk_fma_f16 v113, 0xb3a8, v113, v114 op_sel:[0,0,1] op_sel_hi:[0,1,0] neg_lo:[0,1,0] neg_hi:[0,1,0]
	v_pk_fma_f16 v114, 0x3770, v123, v33 op_sel:[0,0,1] op_sel_hi:[0,1,0]
	v_pk_mul_f16 v34, 0xb9fd, v34 op_sel_hi:[0,1]
	v_add_f16_e64 v116, v141, v116
	v_pack_b32_f16 v128, v128, v129
	v_pk_add_f16 v129, v25, v143
	v_alignbit_b32 v141, s0, v25, 16
	v_pk_add_f16 v113, v25, v113 op_sel:[1,0] op_sel_hi:[0,1]
	v_alignbit_b32 v143, s0, v114, 16
	v_pk_fma_f16 v33, 0x3770, v123, v33 op_sel:[0,0,1] op_sel_hi:[0,1,0] neg_lo:[0,1,0] neg_hi:[0,1,0]
	v_pk_fma_f16 v123, 0xb94e, v125, v34 op_sel:[0,0,1] op_sel_hi:[0,1,0]
	v_pk_mul_f16 v29, 0x388b, v29 op_sel_hi:[0,1]
	v_pk_add_f16 v134, v141, v134
	v_pk_add_f16 v129, v143, v129
	;; [unrolled: 1-line block ×3, first 2 shown]
	v_alignbit_b32 v113, s0, v123, 16
	v_pk_fma_f16 v34, 0xb94e, v125, v34 op_sel:[0,0,1] op_sel_hi:[0,1,0] neg_lo:[0,1,0] neg_hi:[0,1,0]
	v_pk_fma_f16 v125, 0x3a95, v136, v29 op_sel:[0,0,1] op_sel_hi:[0,1,0]
	v_pk_mul_f16 v30, 0xb5ac, v30 op_sel_hi:[0,1]
	v_bfi_b32 v26, 0xffff, v111, v26
	v_pk_add_f16 v114, v114, v134
	v_pk_add_f16 v113, v113, v129
	;; [unrolled: 1-line block ×3, first 2 shown]
	v_alignbit_b32 v34, s0, v125, 16
	v_pk_fma_f16 v29, 0x3a95, v136, v29 op_sel:[0,0,1] op_sel_hi:[0,1,0] neg_lo:[0,1,0] neg_hi:[0,1,0]
	v_pk_fma_f16 v129, 0xbb7b, v137, v30 op_sel:[0,0,1] op_sel_hi:[0,1,0]
	v_pk_add_f16 v25, v25, v26
	v_bfi_b32 v26, 0xffff, v36, v135
	v_pk_add_f16 v114, v123, v114
	v_pk_add_f16 v34, v34, v113
	;; [unrolled: 1-line block ×3, first 2 shown]
	v_alignbit_b32 v33, s0, v129, 16
	v_pk_mul_f16 v27, 0x2fb7, v27 op_sel_hi:[0,1]
	v_pk_add_f16 v25, v26, v25
	v_bfi_b32 v26, 0xffff, v35, v138
	v_pk_add_f16 v36, v125, v114
	v_pk_fma_f16 v30, 0xbb7b, v137, v30 op_sel:[0,0,1] op_sel_hi:[0,1,0] neg_lo:[0,1,0] neg_hi:[0,1,0]
	v_pk_add_f16 v33, v33, v34
	v_pk_fma_f16 v34, 0x3bf1, v139, v27 op_sel:[0,0,1] op_sel_hi:[0,1,0]
	v_pk_add_f16 v25, v26, v25
	v_bfi_b32 v26, 0xffff, v32, v140
	v_pk_add_f16 v29, v30, v29
	v_pk_add_f16 v30, v129, v36
	v_alignbit_b32 v35, s0, v34, 16
	v_pk_fma_f16 v27, 0x3bf1, v139, v27 op_sel:[0,0,1] op_sel_hi:[0,1,0] neg_lo:[0,1,0] neg_hi:[0,1,0]
	v_fmac_f16_e64 v148, 0x3a95, v139
	v_fmac_f16_e64 v147, 0xb94e, v139
	v_pk_add_f16 v25, v26, v25
	v_bfi_b32 v26, 0xffff, v31, v142
	v_add_f16_e64 v130, v149, v130
	v_add_f16_e64 v133, v145, v133
	v_pk_add_f16 v33, v35, v33
	v_pk_add_f16 v27, v27, v29
	;; [unrolled: 1-line block ×3, first 2 shown]
	v_add_f16_e64 v124, v148, v124
	v_add_f16_e64 v122, v147, v122
	v_pk_add_f16 v25, v26, v25
	v_bfi_b32 v26, 0xffff, v28, v144
	v_pack_b32_f16 v32, v126, v127
	v_pack_b32_f16 v30, v132, v133
	;; [unrolled: 1-line block ×3, first 2 shown]
	v_alignbit_b32 v29, v29, v27, 16
	v_pack_b32_f16 v27, v33, v27
	v_pack_b32_f16 v28, v119, v124
	v_pack_b32_f16 v33, v117, v116
	s_barrier_wait -1
	global_inv scope:SCOPE_SE
	v_pack_b32_f16 v34, v115, v120
	v_pack_b32_f16 v35, v121, v122
	v_pk_add_f16 v25, v26, v25
	ds_store_2addr_b32 v86, v112, v118 offset1:1
	ds_store_2addr_b32 v86, v32, v128 offset0:2 offset1:3
	ds_store_2addr_b32 v86, v31, v30 offset0:4 offset1:5
	;; [unrolled: 1-line block ×5, first 2 shown]
	ds_store_b32 v86, v25 offset:48
	s_and_saveexec_b32 s0, vcc_lo
	s_cbranch_execz .LBB0_13
; %bb.12:
	v_lshrrev_b32_e32 v114, 16, v79
	v_sub_f16_e32 v29, v10, v67
	v_add_f16_e32 v115, v68, v71
	v_sub_f16_e32 v27, v13, v12
	v_add_f16_e32 v116, v69, v70
	v_add_f16_e32 v117, v114, v72
	v_sub_f16_e32 v124, v72, v114
	v_mul_f16_e32 v121, 0x3b15, v115
	v_sub_f16_e32 v28, v14, v11
	v_add_f16_e32 v31, v67, v10
	v_mul_f16_e32 v120, 0xbbc4, v117
	v_sub_f16_e32 v122, v71, v68
	v_mul_f16_e32 v123, 0xb9fd, v116
	v_fmamk_f16 v33, v27, 0xb770, v121
	v_mul_f16_e32 v126, 0xb3a8, v124
	v_fmamk_f16 v32, v29, 0x33a8, v120
	v_add_f16_e32 v30, v12, v13
	v_fmamk_f16 v35, v28, 0x394e, v123
	v_sub_f16_e32 v127, v70, v69
	v_mul_f16_e64 v128, 0x3770, v122
	v_add_f16_e32 v34, v110, v32
	v_fmamk_f16 v36, v31, 0xbbc4, v126
	v_add_f16_e32 v32, v11, v14
	v_mul_f16_e64 v130, 0xb94e, v127
	v_sub_f16_e64 v131, v74, v73
	v_add_f16_e32 v33, v33, v34
	v_add_f16_e32 v36, v9, v36
	;; [unrolled: 1-line block ×3, first 2 shown]
	v_fma_f16 v111, 0xb9fd, v32, v130
	v_mul_f16_e64 v133, 0x3a95, v131
	v_add_f16_e32 v33, v35, v33
	v_fma_f16 v35, 0x3b15, v30, v128
	v_sub_f16_e64 v135, v76, v75
	v_sub_f16_e32 v25, v15, v18
	v_add_f16_e32 v119, v75, v76
	v_mul_f16_e32 v125, 0x388b, v118
	v_add_f16_e32 v36, v35, v36
	v_add_f16_e32 v35, v18, v15
	v_mul_f16_e64 v136, 0xbb7b, v135
	v_mul_f16_e64 v137, 0xb9fd, v117
	v_sub_f16_e32 v26, v16, v17
	v_add_f16_e32 v111, v111, v36
	v_fma_f16 v112, 0x388b, v35, v133
	v_add_f16_e32 v36, v17, v16
	v_fmamk_f16 v34, v25, 0xba95, v125
	v_mul_f16_e64 v129, 0xb5ac, v119
	v_add_f16_e64 v132, v77, v78
	v_add_f16_e32 v111, v112, v111
	v_fma_f16 v112, 0xb5ac, v36, v136
	v_fma_f16 v113, 0x394e, v29, v137
	v_mul_f16_e64 v138, 0x2fb7, v115
	v_add_f16_e32 v34, v34, v33
	v_fma_f16 v86, 0x3b7b, v26, v129
	v_mul_f16_e64 v134, 0x2fb7, v132
	v_sub_f16_e32 v33, v79, v24
	v_add_f16_e32 v111, v112, v111
	v_add_f16_e32 v112, v110, v113
	v_fma_f16 v113, 0xbbf1, v27, v138
	v_mul_f16_e64 v140, 0x388b, v116
	v_add_f16_e32 v34, v86, v34
	v_fma_f16 v86, 0xbbf1, v33, v134
	v_sub_f16_e64 v139, v78, v77
	v_mul_f16_e64 v142, 0xb94e, v124
	v_add_f16_e32 v112, v113, v112
	v_fma_f16 v113, 0x3a95, v28, v140
	v_mul_f16_e64 v143, 0xbbc4, v118
	v_add_f16_e32 v34, v86, v34
	v_add_f16_e32 v86, v24, v79
	v_mul_f16_e64 v141, 0x3bf1, v139
	v_fma_f16 v145, 0xb9fd, v31, v142
	v_mul_f16_e64 v146, 0x3bf1, v122
	v_add_f16_e32 v112, v113, v112
	v_fma_f16 v113, 0xb3a8, v25, v143
	v_mul_f16_e64 v147, 0x3b15, v119
	v_fma_f16 v144, 0x2fb7, v86, v141
	v_add_f16_e64 v145, v9, v145
	v_fma_f16 v148, 0x2fb7, v30, v146
	v_mul_f16_e64 v149, 0xba95, v127
	v_add_f16_e32 v112, v113, v112
	v_fma_f16 v113, 0xb770, v26, v147
	v_mul_f16_e64 v150, 0xb5ac, v132
	v_mul_f16_e64 v151, 0xb5ac, v117
	v_add_f16_e64 v111, v144, v111
	v_add_f16_e64 v144, v148, v145
	v_fma_f16 v145, 0x388b, v32, v149
	v_mul_f16_e64 v148, 0x33a8, v131
	v_add_f16_e32 v112, v113, v112
	v_fma_f16 v152, 0x3b7b, v33, v150
	v_fma_f16 v153, 0x3b7b, v29, v151
	v_mul_f16_e64 v154, 0xb9fd, v115
	v_add_f16_e64 v113, v145, v144
	v_fma_f16 v144, 0xbbc4, v35, v148
	v_mul_f16_e64 v145, 0x3770, v135
	v_add_f16_e64 v112, v152, v112
	v_add_f16_e64 v152, v110, v153
	v_fma_f16 v153, 0xb94e, v27, v154
	v_mul_f16_e64 v155, 0x3b15, v116
	v_add_f16_e64 v113, v144, v113
	v_fma_f16 v144, 0x3b15, v36, v145
	v_mul_f16_e64 v156, 0xbb7b, v124
	;; [unrolled: 3-line block ×3, first 2 shown]
	v_add_f16_e64 v113, v144, v113
	v_mul_f16_e64 v144, 0xbb7b, v139
	v_fma_f16 v159, 0xb5ac, v31, v156
	v_mul_f16_e64 v160, 0x394e, v122
	v_add_f16_e64 v152, v153, v152
	v_fma_f16 v153, 0x3bf1, v25, v157
	v_mul_f16_e64 v161, 0xbbc4, v119
	v_fma_f16 v158, 0xb5ac, v86, v144
	v_add_f16_e64 v159, v9, v159
	v_fma_f16 v162, 0xb9fd, v30, v160
	v_mul_f16_e64 v163, 0x3770, v127
	v_add_f16_e64 v152, v153, v152
	v_fma_f16 v153, 0xb3a8, v26, v161
	v_add_f16_e64 v113, v158, v113
	v_add_f16_e64 v158, v162, v159
	v_fma_f16 v159, 0x3b15, v32, v163
	v_mul_f16_e64 v162, 0xbbf1, v131
	v_add_f16_e64 v152, v153, v152
	v_mul_f16_e64 v153, 0x388b, v132
	v_mul_f16_e64 v164, 0x2fb7, v117
	v_add_f16_e64 v158, v159, v158
	v_fma_f16 v159, 0x2fb7, v35, v162
	v_mul_f16_e64 v165, 0x33a8, v135
	v_fma_f16 v166, 0xba95, v33, v153
	v_fma_f16 v167, 0x3bf1, v29, v164
	v_mul_f16_e64 v168, 0xbbc4, v115
	v_add_f16_e64 v158, v159, v158
	v_fma_f16 v159, 0xbbc4, v36, v165
	v_add_f16_e64 v152, v166, v152
	v_add_f16_e64 v166, v110, v167
	v_fma_f16 v167, 0x33a8, v27, v168
	v_mul_f16_e64 v169, 0xb5ac, v116
	v_mul_f16_e64 v170, 0xbbf1, v124
	v_add_f16_e64 v158, v159, v158
	v_mul_f16_e64 v159, 0x3a95, v139
	v_add_f16_e64 v166, v167, v166
	v_fma_f16 v167, 0xbb7b, v28, v169
	v_mul_f16_e64 v171, 0x3b15, v118
	v_fma_f16 v173, 0x2fb7, v31, v170
	v_mul_f16_e64 v174, 0xb3a8, v122
	v_fma_f16 v172, 0x388b, v86, v159
	v_add_f16_e64 v166, v167, v166
	v_fma_f16 v167, 0xb770, v25, v171
	v_mul_f16_e64 v175, 0x388b, v119
	v_add_f16_e64 v173, v9, v173
	v_fma_f16 v176, 0xbbc4, v30, v174
	v_mul_f16_e64 v177, 0x3b7b, v127
	v_add_f16_e64 v166, v167, v166
	v_fma_f16 v167, 0x3a95, v26, v175
	v_add_f16_e64 v158, v172, v158
	v_add_f16_e64 v172, v176, v173
	v_fma_f16 v173, 0xb5ac, v32, v177
	v_mul_f16_e64 v176, 0x3770, v131
	v_add_f16_e64 v166, v167, v166
	v_mul_f16_e64 v167, 0x388b, v117
	v_mul_f16_e64 v179, 0xba95, v135
	v_add_f16_e64 v172, v173, v172
	v_fma_f16 v173, 0x3b15, v35, v176
	v_mul_f16_e64 v178, 0xb9fd, v132
	v_fma_f16 v180, 0x3a95, v29, v167
	v_mul_f16_e64 v181, 0xb5ac, v115
	v_mul_f16_e64 v184, 0xbbc4, v116
	v_add_f16_e64 v172, v173, v172
	v_fma_f16 v173, 0x388b, v36, v179
	v_fma_f16 v182, 0x394e, v33, v178
	v_add_f16_e64 v180, v110, v180
	v_fma_f16 v183, 0x3b7b, v27, v181
	v_mul_f16_e64 v187, 0xbb7b, v122
	v_add_f16_e64 v172, v173, v172
	v_mul_f16_e64 v173, 0xba95, v124
	v_add_f16_e64 v166, v182, v166
	v_add_f16_e64 v180, v183, v180
	v_fma_f16 v182, 0x33a8, v28, v184
	v_mul_f16_e64 v183, 0xb9fd, v118
	v_fma_f16 v186, 0x388b, v31, v173
	v_mul_f16_e64 v188, 0x2fb7, v119
	v_fma_f16 v189, 0xb5ac, v30, v187
	v_add_f16_e64 v180, v182, v180
	v_fma_f16 v182, 0xb94e, v25, v183
	v_add_f16_e64 v186, v9, v186
	v_mul_f16_e64 v190, 0xb3a8, v127
	v_mul_f16_e64 v192, 0x394e, v131
	v_mul_f16_e32 v117, 0x3b15, v117
	v_add_f16_e64 v180, v182, v180
	v_fma_f16 v182, 0xbbf1, v26, v188
	v_add_f16_e64 v186, v189, v186
	v_fma_f16 v189, 0xbbc4, v32, v190
	v_fma_f16 v193, 0x3770, v29, v117
	v_mul_f16_e32 v115, 0x388b, v115
	v_add_f16_e64 v180, v182, v180
	v_add_f16_e32 v10, v10, v9
	v_add_f16_e64 v182, v189, v186
	v_fma_f16 v186, 0xb9fd, v35, v192
	v_mul_f16_e64 v189, 0x3bf1, v135
	v_mul_f16_e64 v194, 0x3770, v139
	v_add_f16_e64 v193, v110, v193
	v_fma_f16 v195, 0x3a95, v27, v115
	v_add_f16_e64 v182, v186, v182
	v_fma_f16 v186, 0x2fb7, v36, v189
	v_mul_f16_e32 v116, 0x2fb7, v116
	v_add_f16_e32 v10, v13, v10
	v_add_f16_e32 v13, v72, v110
	v_add_f16_e64 v193, v195, v193
	v_add_f16_e64 v182, v186, v182
	v_fma_f16 v186, 0x3b15, v86, v194
	v_fma_f16 v195, 0x3bf1, v28, v116
	v_mul_f16_e32 v118, 0xb5ac, v118
	v_add_f16_e32 v10, v14, v10
	v_add_f16_e32 v13, v71, v13
	v_add_f16_e64 v182, v186, v182
	v_add_f16_e64 v186, v195, v193
	v_fmamk_f16 v72, v25, 0x3b7b, v118
	v_mul_f16_e32 v119, 0xb9fd, v119
	v_mul_f16_e32 v124, 0xb770, v124
	v_add_f16_e32 v10, v15, v10
	v_add_f16_e32 v13, v70, v13
	v_add_f16_e64 v14, v72, v186
	v_fmamk_f16 v71, v26, 0x394e, v119
	v_fmamk_f16 v72, v31, 0x3b15, v124
	v_mul_f16_e32 v15, 0xba95, v122
	v_add_f16_e32 v10, v16, v10
	v_add_f16_e32 v13, v74, v13
	;; [unrolled: 1-line block ×4, first 2 shown]
	v_fmamk_f16 v16, v30, 0x388b, v15
	v_mul_f16_e32 v71, 0xbbf1, v127
	v_add_f16_e32 v10, v79, v10
	v_add_f16_e32 v13, v76, v13
	v_mul_f16_e64 v72, 0xbbc4, v132
	v_add_f16_e32 v16, v16, v70
	v_fmamk_f16 v70, v32, 0x2fb7, v71
	v_mul_f16_e64 v74, 0xbb7b, v131
	v_add_f16_e32 v10, v24, v10
	v_add_f16_e32 v13, v78, v13
	v_fmamk_f16 v24, v33, 0x33a8, v72
	v_add_f16_e32 v16, v70, v16
	v_fmamk_f16 v70, v35, 0xb5ac, v74
	v_add_f16_e32 v10, v17, v10
	v_add_f16_e32 v13, v77, v13
	v_mul_f16_e64 v17, 0xb94e, v135
	v_add_f16_e32 v14, v24, v14
	v_add_f16_e32 v16, v70, v16
	;; [unrolled: 1-line block ×4, first 2 shown]
	v_fmac_f16_e32 v120, 0xb3a8, v29
	v_fmamk_f16 v18, v36, 0xb9fd, v17
	v_mul_f16_e64 v24, 0xb3a8, v139
	v_add_f16_e32 v10, v11, v10
	v_add_f16_e32 v11, v73, v13
	;; [unrolled: 1-line block ×3, first 2 shown]
	v_fmac_f16_e32 v121, 0x3770, v27
	v_add_f16_e32 v16, v18, v16
	v_fmamk_f16 v18, v86, 0xbbc4, v24
	v_add_f16_e32 v10, v12, v10
	v_add_f16_e32 v11, v69, v11
	;; [unrolled: 1-line block ×3, first 2 shown]
	v_fma_f16 v69, v30, 0x2fb7, -v146
	v_add_f16_e32 v13, v18, v16
	v_fma_f16 v16, v31, 0xbbc4, -v126
	v_fma_f16 v18, v30, 0x3b15, -v128
	v_add_f16_e32 v11, v68, v11
	v_fma_f16 v68, v31, 0xb9fd, -v142
	v_fmac_f16_e64 v151, 0xbb7b, v29
	v_add_f16_e32 v16, v9, v16
	v_fmac_f16_e64 v154, 0x394e, v27
	v_fmac_f16_e64 v164, 0xbbf1, v29
	v_add_f16_e32 v68, v9, v68
	v_add_f16_e64 v70, v110, v151
	v_add_f16_e32 v16, v18, v16
	v_fma_f16 v18, v32, 0xb9fd, -v130
	v_fma_f16 v73, v86, 0xb5ac, -v144
	v_add_f16_e32 v68, v69, v68
	v_fma_f16 v69, v32, 0x388b, -v149
	v_add_f16_e64 v75, v110, v164
	v_add_f16_e32 v16, v18, v16
	v_fma_f16 v18, v35, 0x388b, -v133
	v_fmac_f16_e64 v168, 0xb3a8, v27
	v_fma_f16 v77, v86, 0x388b, -v159
	v_fmac_f16_e64 v137, 0xb94e, v29
	v_fmac_f16_e64 v167, 0xba95, v29
	v_add_f16_e32 v16, v18, v16
	v_fma_f16 v18, v36, 0xb5ac, -v136
	v_fmac_f16_e32 v117, 0xb770, v29
	v_fma_f16 v29, v31, 0x3b15, -v124
	v_add_f16_e32 v10, v67, v10
	v_add_f16_e64 v67, v110, v137
	v_add_f16_e32 v16, v18, v16
	v_fma_f16 v18, v86, 0x2fb7, -v141
	v_fmac_f16_e64 v138, 0x3bf1, v27
	v_fma_f16 v76, v30, 0xbbc4, -v174
	v_fmac_f16_e64 v181, 0xbb7b, v27
	v_add_f16_e32 v78, v110, v117
	v_add_f16_e32 v16, v18, v16
	;; [unrolled: 1-line block ×3, first 2 shown]
	v_fma_f16 v68, v35, 0xbbc4, -v148
	v_add_f16_e64 v69, v154, v70
	v_fma_f16 v70, v31, 0xb5ac, -v156
	v_fmac_f16_e32 v115, 0xba95, v27
	v_fma_f16 v15, v30, 0x388b, -v15
	v_add_f16_e32 v18, v68, v18
	v_fma_f16 v68, v36, 0x3b15, -v145
	v_mul_f16_e64 v185, 0xb94e, v139
	v_fmac_f16_e32 v123, 0xb94e, v28
	v_add_f16_e64 v67, v138, v67
	v_fmac_f16_e64 v140, 0xba95, v28
	v_add_f16_e32 v18, v68, v18
	v_add_f16_e32 v68, v9, v70
	v_fma_f16 v70, v30, 0xb9fd, -v160
	v_fmac_f16_e64 v155, 0x3770, v28
	v_fmac_f16_e64 v169, 0x3b7b, v28
	v_add_f16_e32 v18, v73, v18
	v_add_f16_e64 v73, v168, v75
	v_add_f16_e32 v68, v70, v68
	v_fma_f16 v70, v32, 0x3b15, -v163
	v_fma_f16 v75, v36, 0xbbc4, -v165
	v_fmac_f16_e64 v184, 0xb3a8, v28
	v_fmac_f16_e32 v116, 0xbbf1, v28
	v_fma_f16 v191, 0xb9fd, v86, v185
	v_add_f16_e32 v68, v70, v68
	v_fma_f16 v70, v35, 0x2fb7, -v162
	v_add_f16_e32 v12, v123, v12
	v_fmac_f16_e32 v125, 0x3a95, v25
	v_add_f16_e64 v67, v140, v67
	v_fmac_f16_e64 v143, 0x33a8, v25
	v_add_f16_e32 v68, v70, v68
	v_fma_f16 v70, v31, 0x2fb7, -v170
	v_add_f16_e64 v69, v155, v69
	v_fmac_f16_e64 v157, 0xbbf1, v25
	v_add_f16_e64 v73, v169, v73
	v_add_f16_e32 v68, v75, v68
	v_add_f16_e32 v70, v9, v70
	v_add_f16_e64 v75, v110, v167
	v_fmac_f16_e64 v171, 0x3770, v25
	v_fmac_f16_e64 v183, 0x394e, v25
	v_add_f16_e32 v68, v77, v68
	v_fma_f16 v77, v31, 0x388b, -v173
	v_add_f16_e32 v70, v76, v70
	v_fma_f16 v76, v32, 0xb5ac, -v177
	v_add_f16_e64 v75, v181, v75
	v_fma_f16 v28, v35, 0xb9fd, -v192
	v_add_f16_e32 v31, v9, v77
	v_fma_f16 v77, v30, 0xb5ac, -v187
	v_add_f16_e32 v9, v9, v29
	;; [unrolled: 2-line block ×3, first 2 shown]
	v_add_f16_e32 v70, v76, v70
	v_add_f16_e32 v27, v77, v31
	;; [unrolled: 1-line block ×3, first 2 shown]
	v_fma_f16 v15, v32, 0x2fb7, -v71
	v_fma_f16 v76, v35, 0x3b15, -v176
	v_add_f16_e64 v75, v184, v75
	v_add_f16_e32 v27, v29, v27
	v_add_f16_e32 v29, v116, v30
	v_fmac_f16_e32 v118, 0xbb7b, v25
	v_add_f16_e32 v9, v15, v9
	v_fma_f16 v15, v35, 0xb5ac, -v74
	v_add_f16_e64 v172, v191, v172
	v_mul_f16_e64 v191, 0x3b15, v132
	v_add_f16_e32 v12, v125, v12
	v_fmac_f16_e64 v129, 0xbb7b, v26
	v_add_f16_e64 v67, v143, v67
	v_fmac_f16_e64 v147, 0x3770, v26
	v_add_f16_e64 v69, v157, v69
	v_fmac_f16_e64 v161, 0x33a8, v26
	v_add_f16_e64 v73, v171, v73
	v_fmac_f16_e64 v175, 0xba95, v26
	v_add_f16_e32 v70, v76, v70
	v_fma_f16 v76, v36, 0x388b, -v179
	v_add_f16_e64 v75, v183, v75
	v_fmac_f16_e64 v188, 0x3bf1, v26
	v_add_f16_e32 v25, v28, v27
	v_fma_f16 v27, v36, 0x2fb7, -v189
	v_add_f16_e32 v28, v118, v29
	v_fmac_f16_e32 v119, 0xb94e, v26
	v_add_f16_e32 v9, v15, v9
	v_fma_f16 v15, v36, 0xb9fd, -v17
	v_fma_f16 v196, 0xb770, v33, v191
	v_add_f16_e64 v12, v129, v12
	v_fmac_f16_e64 v134, 0x3bf1, v33
	v_add_f16_e64 v67, v147, v67
	v_fmac_f16_e64 v150, 0xbb7b, v33
	v_add_f16_e64 v69, v161, v69
	v_fmac_f16_e64 v153, 0x3a95, v33
	v_add_f16_e32 v11, v114, v11
	v_add_f16_e64 v73, v175, v73
	v_fmac_f16_e64 v178, 0xb94e, v33
	v_add_f16_e32 v70, v76, v70
	v_fma_f16 v76, v86, 0xb9fd, -v185
	v_add_f16_e64 v75, v188, v75
	v_fmac_f16_e64 v191, 0x3770, v33
	v_add_f16_e32 v17, v27, v25
	v_fma_f16 v25, v86, 0x3b15, -v194
	v_add_f16_e32 v26, v119, v28
	v_fmac_f16_e32 v72, 0xb3a8, v33
	v_add_f16_e32 v9, v15, v9
	v_fma_f16 v15, v86, 0xbbc4, -v24
	v_add_f16_e64 v180, v196, v180
	v_add_f16_e64 v12, v134, v12
	;; [unrolled: 1-line block ×5, first 2 shown]
	v_add_f16_e32 v24, v76, v70
	v_add_f16_e64 v27, v191, v75
	v_add_f16_e32 v17, v25, v17
	v_add_f16_e32 v25, v72, v26
	;; [unrolled: 1-line block ×3, first 2 shown]
	v_pack_b32_f16 v13, v13, v14
	v_pack_b32_f16 v10, v10, v11
	;; [unrolled: 1-line block ×13, first 2 shown]
	ds_store_2addr_b32 v37, v10, v13 offset0:169 offset1:170
	ds_store_2addr_b32 v37, v14, v11 offset0:171 offset1:172
	;; [unrolled: 1-line block ×6, first 2 shown]
	ds_store_b32 v37, v9 offset:724
.LBB0_13:
	s_wait_alu 0xfffe
	s_or_b32 exec_lo, exec_lo, s0
	global_wb scope:SCOPE_SE
	s_wait_dscnt 0x0
	s_barrier_signal -1
	s_barrier_wait -1
	global_inv scope:SCOPE_SE
	ds_load_2addr_b32 v[9:10], v41 offset1:13
	ds_load_2addr_b32 v[11:12], v41 offset0:78 offset1:91
	ds_load_2addr_b32 v[13:14], v41 offset0:104 offset1:117
	;; [unrolled: 1-line block ×6, first 2 shown]
	global_wb scope:SCOPE_SE
	s_wait_dscnt 0x0
	s_barrier_signal -1
	s_barrier_wait -1
	global_inv scope:SCOPE_SE
	s_mov_b32 s8, 0x16816817
	s_mov_b32 s9, 0x3f768168
	v_lshrrev_b32_e32 v28, 16, v9
	v_lshrrev_b32_e32 v29, 16, v12
	;; [unrolled: 1-line block ×5, first 2 shown]
	v_mul_f16_e32 v71, v92, v12
	v_mul_f16_e32 v72, v92, v29
	;; [unrolled: 1-line block ×3, first 2 shown]
	v_lshrrev_b32_e32 v35, 16, v17
	v_mul_f16_e32 v75, v92, v13
	v_lshrrev_b32_e32 v74, 16, v27
	v_fmac_f16_e32 v72, v80, v12
	v_mul_f16_e32 v12, v97, v33
	v_fmac_f16_e32 v73, v80, v13
	v_mul_f16_e32 v13, v97, v14
	v_lshrrev_b32_e32 v69, 16, v26
	v_fma_f16 v29, v80, v29, -v71
	v_fmac_f16_e32 v12, v85, v14
	v_mul_f16_e32 v14, v95, v67
	v_mul_f16_e32 v71, v96, v35
	v_fma_f16 v31, v80, v31, -v75
	v_mul_f16_e32 v75, v96, v17
	v_fma_f16 v13, v85, v33, -v13
	v_mul_f16_e32 v33, v95, v18
	v_fmac_f16_e32 v14, v83, v18
	v_mul_f16_e32 v18, v93, v74
	v_lshrrev_b32_e32 v30, 16, v10
	v_fmac_f16_e32 v71, v84, v17
	v_fma_f16 v17, v84, v35, -v75
	v_mul_f16_e32 v35, v94, v69
	v_mul_f16_e32 v75, v94, v26
	v_fma_f16 v33, v83, v67, -v33
	v_mul_f16_e32 v67, v93, v27
	v_lshrrev_b32_e32 v32, 16, v15
	v_fmac_f16_e32 v18, v81, v27
	v_sub_f16_e32 v27, v9, v72
	v_sub_f16_e32 v29, v28, v29
	v_lshrrev_b32_e32 v34, 16, v16
	v_fmac_f16_e32 v35, v82, v26
	v_fma_f16 v26, v82, v69, -v75
	v_sub_f16_e32 v69, v10, v73
	v_sub_f16_e32 v31, v30, v31
	v_lshrrev_b32_e32 v36, 16, v24
	v_lshrrev_b32_e32 v68, 16, v25
	;; [unrolled: 1-line block ×3, first 2 shown]
	v_fma_f16 v67, v81, v74, -v67
	v_fma_f16 v9, v9, 2.0, -v27
	v_fma_f16 v28, v28, 2.0, -v29
	v_sub_f16_e32 v12, v15, v12
	v_sub_f16_e32 v13, v32, v13
	v_fma_f16 v10, v10, 2.0, -v69
	v_fma_f16 v30, v30, 2.0, -v31
	v_sub_f16_e32 v71, v16, v71
	v_sub_f16_e32 v17, v34, v17
	;; [unrolled: 1-line block ×8, first 2 shown]
	v_fma_f16 v15, v15, 2.0, -v12
	v_fma_f16 v32, v32, 2.0, -v13
	v_pack_b32_f16 v9, v9, v28
	v_pack_b32_f16 v27, v27, v29
	v_fma_f16 v16, v16, 2.0, -v71
	v_fma_f16 v34, v34, 2.0, -v17
	v_pack_b32_f16 v10, v10, v30
	v_pack_b32_f16 v28, v69, v31
	v_fma_f16 v24, v24, 2.0, -v14
	v_fma_f16 v36, v36, 2.0, -v33
	;; [unrolled: 1-line block ×6, first 2 shown]
	ds_store_2addr_b32 v41, v9, v27 offset1:13
	ds_store_2addr_b32 v41, v10, v28 offset0:26 offset1:39
	v_pack_b32_f16 v9, v15, v32
	v_pack_b32_f16 v10, v12, v13
	;; [unrolled: 1-line block ×10, first 2 shown]
	ds_store_2addr_b32 v87, v9, v10 offset0:52 offset1:65
	ds_store_2addr_b32 v88, v12, v13 offset0:78 offset1:91
	;; [unrolled: 1-line block ×5, first 2 shown]
	global_wb scope:SCOPE_SE
	s_wait_dscnt 0x0
	s_barrier_signal -1
	s_barrier_wait -1
	global_inv scope:SCOPE_SE
	ds_load_2addr_b32 v[9:10], v41 offset1:13
	ds_load_2addr_b32 v[11:12], v41 offset0:26 offset1:39
	ds_load_2addr_b32 v[13:14], v41 offset0:52 offset1:65
	;; [unrolled: 1-line block ×6, first 2 shown]
	s_wait_dscnt 0x6
	v_lshrrev_b32_e32 v28, 16, v9
	s_wait_dscnt 0x5
	v_lshrrev_b32_e32 v29, 16, v11
	;; [unrolled: 2-line block ×6, first 2 shown]
	v_mul_f16_e32 v71, v109, v29
	v_mul_f16_e32 v72, v109, v11
	;; [unrolled: 1-line block ×4, first 2 shown]
	s_wait_dscnt 0x0
	v_lshrrev_b32_e32 v34, 16, v26
	v_lshrrev_b32_e32 v36, 16, v12
	v_fmac_f16_e32 v71, v4, v11
	v_fma_f16 v4, v4, v29, -v72
	v_fmac_f16_e32 v73, v5, v13
	v_fma_f16 v5, v5, v30, -v74
	v_mul_f16_e32 v11, v107, v31
	v_mul_f16_e32 v13, v107, v15
	;; [unrolled: 1-line block ×5, first 2 shown]
	v_lshrrev_b32_e32 v67, 16, v14
	v_lshrrev_b32_e32 v68, 16, v16
	;; [unrolled: 1-line block ×3, first 2 shown]
	v_fmac_f16_e32 v11, v6, v15
	v_fma_f16 v6, v6, v31, -v13
	v_fmac_f16_e32 v29, v7, v17
	v_fma_f16 v7, v7, v32, -v30
	v_fmac_f16_e32 v72, v19, v24
	v_mul_f16_e32 v13, v105, v24
	v_mul_f16_e32 v15, v104, v34
	v_mul_f16_e32 v17, v104, v26
	v_mul_f16_e32 v24, v103, v36
	v_mul_f16_e32 v30, v103, v12
	v_lshrrev_b32_e32 v70, 16, v25
	v_lshrrev_b32_e32 v75, 16, v27
	v_fma_f16 v13, v19, v33, -v13
	v_fmac_f16_e32 v15, v20, v26
	v_fma_f16 v17, v20, v34, -v17
	v_fmac_f16_e32 v24, v0, v12
	v_fma_f16 v0, v0, v36, -v30
	v_mul_f16_e32 v12, v102, v67
	v_mul_f16_e32 v19, v102, v14
	;; [unrolled: 1-line block ×5, first 2 shown]
	v_fmac_f16_e32 v12, v1, v14
	v_fma_f16 v1, v1, v67, -v19
	v_fmac_f16_e32 v20, v2, v16
	v_fma_f16 v2, v2, v68, -v26
	v_fmac_f16_e32 v30, v3, v18
	v_mul_f16_e32 v14, v100, v18
	v_mul_f16_e32 v16, v99, v70
	v_mul_f16_e32 v18, v99, v25
	v_mul_f16_e32 v19, v98, v75
	v_mul_f16_e32 v26, v98, v27
	v_fma_f16 v3, v3, v69, -v14
	v_fmac_f16_e32 v16, v21, v25
	v_fma_f16 v14, v21, v70, -v18
	v_fmac_f16_e32 v19, v22, v27
	v_fma_f16 v18, v22, v75, -v26
	v_add_f16_e32 v21, v71, v15
	v_add_f16_e32 v22, v4, v17
	v_sub_f16_e32 v4, v4, v17
	v_add_f16_e32 v17, v73, v72
	v_add_f16_e32 v25, v5, v13
	v_sub_f16_e32 v15, v71, v15
	v_sub_f16_e32 v26, v73, v72
	;; [unrolled: 1-line block ×3, first 2 shown]
	v_add_f16_e32 v13, v11, v29
	v_add_f16_e32 v27, v6, v7
	v_sub_f16_e32 v11, v29, v11
	v_sub_f16_e32 v6, v7, v6
	v_add_f16_e32 v7, v17, v21
	v_add_f16_e32 v29, v25, v22
	v_sub_f16_e32 v31, v17, v21
	v_sub_f16_e32 v32, v25, v22
	;; [unrolled: 1-line block ×6, first 2 shown]
	v_add_f16_e32 v33, v11, v26
	v_add_f16_e32 v34, v6, v5
	v_sub_f16_e32 v36, v11, v26
	v_sub_f16_e32 v67, v6, v5
	;; [unrolled: 1-line block ×3, first 2 shown]
	v_add_f16_e32 v7, v13, v7
	v_add_f16_e32 v13, v27, v29
	v_sub_f16_e32 v5, v5, v4
	v_sub_f16_e32 v11, v15, v11
	;; [unrolled: 1-line block ×3, first 2 shown]
	v_add_f16_e32 v15, v33, v15
	v_add_f16_e32 v4, v34, v4
	;; [unrolled: 1-line block ×4, first 2 shown]
	v_mul_f16_e32 v21, 0x3a52, v21
	v_mul_f16_e32 v22, 0x3a52, v22
	;; [unrolled: 1-line block ×8, first 2 shown]
	v_fmamk_f16 v7, v7, 0xbcab, v9
	v_fmamk_f16 v13, v13, 0xbcab, v27
	;; [unrolled: 1-line block ×4, first 2 shown]
	v_fma_f16 v28, v31, 0x39e0, -v28
	v_fma_f16 v29, v32, 0x39e0, -v29
	;; [unrolled: 1-line block ×4, first 2 shown]
	v_fmamk_f16 v31, v11, 0xb574, v33
	v_fmamk_f16 v32, v6, 0xb574, v34
	v_fma_f16 v11, v11, 0x3574, -v36
	v_fma_f16 v6, v6, 0x3574, -v67
	;; [unrolled: 1-line block ×4, first 2 shown]
	v_add_f16_e32 v17, v17, v7
	v_add_f16_e32 v25, v25, v13
	;; [unrolled: 1-line block ×6, first 2 shown]
	v_fmac_f16_e32 v31, 0xb70e, v15
	v_fmac_f16_e32 v32, 0xb70e, v4
	;; [unrolled: 1-line block ×6, first 2 shown]
	v_add_f16_e32 v4, v32, v17
	v_sub_f16_e32 v15, v25, v31
	v_add_f16_e32 v21, v6, v7
	v_sub_f16_e32 v22, v13, v11
	v_sub_f16_e32 v6, v7, v6
	v_add_f16_e32 v7, v11, v13
	v_sub_f16_e32 v11, v17, v32
	v_add_f16_e32 v13, v31, v25
	v_add_f16_e32 v17, v24, v19
	;; [unrolled: 1-line block ×3, first 2 shown]
	v_sub_f16_e32 v19, v24, v19
	v_sub_f16_e32 v0, v0, v18
	v_add_f16_e32 v18, v12, v16
	v_add_f16_e32 v24, v1, v14
	v_sub_f16_e32 v33, v28, v5
	v_add_f16_e32 v5, v5, v28
	v_sub_f16_e32 v12, v12, v16
	v_sub_f16_e32 v1, v1, v14
	v_add_f16_e32 v14, v20, v30
	v_add_f16_e32 v16, v2, v3
	v_sub_f16_e32 v20, v30, v20
	v_sub_f16_e32 v2, v3, v2
	v_add_f16_e32 v3, v18, v17
	v_add_f16_e32 v28, v24, v25
	v_lshrrev_b32_e32 v35, 16, v10
	v_add_f16_e32 v34, v26, v29
	v_sub_f16_e32 v26, v29, v26
	v_sub_f16_e32 v29, v18, v17
	;; [unrolled: 1-line block ×7, first 2 shown]
	v_add_f16_e32 v31, v20, v12
	v_add_f16_e32 v32, v2, v1
	v_sub_f16_e32 v36, v20, v12
	v_sub_f16_e32 v67, v2, v1
	v_sub_f16_e32 v12, v12, v19
	v_add_f16_e32 v3, v14, v3
	v_add_f16_e32 v14, v16, v28
	v_sub_f16_e32 v1, v1, v0
	v_sub_f16_e32 v20, v19, v20
	v_sub_f16_e32 v2, v0, v2
	v_add_f16_e32 v16, v31, v19
	v_add_f16_e32 v0, v32, v0
	;; [unrolled: 1-line block ×4, first 2 shown]
	v_mul_f16_e32 v17, 0x3a52, v17
	v_mul_f16_e32 v25, 0x3a52, v25
	;; [unrolled: 1-line block ×8, first 2 shown]
	v_fmamk_f16 v3, v3, 0xbcab, v10
	v_fmamk_f16 v14, v14, 0xbcab, v19
	;; [unrolled: 1-line block ×4, first 2 shown]
	v_fma_f16 v28, v29, 0x39e0, -v28
	v_fma_f16 v31, v30, 0x39e0, -v31
	;; [unrolled: 1-line block ×4, first 2 shown]
	v_fmamk_f16 v29, v20, 0xb574, v32
	v_fmamk_f16 v30, v2, 0xb574, v35
	v_fma_f16 v20, v20, 0x3574, -v36
	v_fma_f16 v2, v2, 0x3574, -v67
	;; [unrolled: 1-line block ×4, first 2 shown]
	v_add_f16_e32 v18, v18, v3
	v_add_f16_e32 v24, v24, v14
	;; [unrolled: 1-line block ×6, first 2 shown]
	v_fmac_f16_e32 v2, 0xb70e, v0
	v_fmac_f16_e32 v20, 0xb70e, v16
	;; [unrolled: 1-line block ×6, first 2 shown]
	v_add_f16_e32 v17, v2, v3
	v_sub_f16_e32 v25, v14, v20
	v_sub_f16_e32 v2, v3, v2
	v_add_f16_e32 v3, v20, v14
	v_pack_b32_f16 v4, v4, v15
	v_pack_b32_f16 v14, v21, v22
	v_pack_b32_f16 v15, v33, v34
	v_pack_b32_f16 v5, v5, v26
	v_add_f16_e32 v0, v30, v18
	v_sub_f16_e32 v16, v24, v29
	v_sub_f16_e32 v32, v28, v1
	v_add_f16_e32 v35, v12, v31
	v_add_f16_e32 v1, v1, v28
	v_sub_f16_e32 v12, v31, v12
	v_sub_f16_e32 v18, v18, v30
	v_add_f16_e32 v20, v29, v24
	ds_store_2addr_b32 v41, v4, v14 offset0:26 offset1:52
	ds_store_2addr_b32 v41, v15, v5 offset0:78 offset1:104
	v_pack_b32_f16 v4, v6, v7
	v_pack_b32_f16 v5, v11, v13
	;; [unrolled: 1-line block ×10, first 2 shown]
	ds_store_2addr_b32 v41, v4, v5 offset0:130 offset1:156
	ds_store_2addr_b32 v41, v9, v6 offset1:13
	ds_store_2addr_b32 v23, v0, v7 offset0:26 offset1:52
	ds_store_2addr_b32 v23, v10, v1 offset0:78 offset1:104
	;; [unrolled: 1-line block ×3, first 2 shown]
	global_wb scope:SCOPE_SE
	s_wait_dscnt 0x0
	s_barrier_signal -1
	s_barrier_wait -1
	global_inv scope:SCOPE_SE
	ds_load_2addr_b32 v[0:1], v41 offset1:14
	s_wait_dscnt 0x0
	v_lshrrev_b32_e32 v4, 16, v0
	s_delay_alu instid0(VALU_DEP_1) | instskip(NEXT) | instid1(VALU_DEP_1)
	v_mul_f16_e32 v2, v66, v4
	v_fmac_f16_e32 v2, v64, v0
	v_mul_f16_e32 v0, v66, v0
	s_delay_alu instid0(VALU_DEP_2) | instskip(NEXT) | instid1(VALU_DEP_2)
	v_cvt_f32_f16_e32 v2, v2
	v_fma_f16 v0, v64, v4, -v0
	s_delay_alu instid0(VALU_DEP_2) | instskip(NEXT) | instid1(VALU_DEP_2)
	v_cvt_f64_f32_e32 v[2:3], v2
	v_cvt_f32_f16_e32 v0, v0
	s_delay_alu instid0(VALU_DEP_1) | instskip(SKIP_1) | instid1(VALU_DEP_1)
	v_cvt_f64_f32_e32 v[4:5], v0
	v_lshrrev_b32_e32 v0, 16, v1
	v_mul_f16_e32 v6, v65, v0
	s_delay_alu instid0(VALU_DEP_1) | instskip(NEXT) | instid1(VALU_DEP_1)
	v_fmac_f16_e32 v6, v63, v1
	v_cvt_f32_f16_e32 v6, v6
	s_delay_alu instid0(VALU_DEP_1) | instskip(SKIP_3) | instid1(VALU_DEP_2)
	v_cvt_f64_f32_e32 v[6:7], v6
	s_wait_alu 0xfffe
	v_mul_f64_e32 v[2:3], s[8:9], v[2:3]
	v_mul_f64_e32 v[4:5], s[8:9], v[4:5]
	v_and_or_b32 v2, 0x1ff, v3, v2
	v_lshrrev_b32_e32 v9, 8, v3
	v_bfe_u32 v11, v3, 20, 11
	s_delay_alu instid0(VALU_DEP_3) | instskip(SKIP_2) | instid1(VALU_DEP_4)
	v_cmp_ne_u32_e64 s0, 0, v2
	v_and_or_b32 v4, 0x1ff, v5, v4
	v_lshrrev_b32_e32 v14, 8, v5
	v_add_nc_u32_e32 v16, 0xfffffc10, v11
	v_bfe_u32 v15, v5, 20, 11
	s_wait_alu 0xf1ff
	v_cndmask_b32_e64 v2, 0, 1, s0
	v_lshrrev_b32_e32 v5, 16, v5
	s_delay_alu instid0(VALU_DEP_2) | instskip(SKIP_1) | instid1(VALU_DEP_2)
	v_and_or_b32 v13, 0xffe, v9, v2
	v_sub_nc_u32_e32 v2, 0x3f1, v11
	v_or_b32_e32 v9, 0x1000, v13
	s_delay_alu instid0(VALU_DEP_2) | instskip(NEXT) | instid1(VALU_DEP_1)
	v_med3_i32 v2, v2, 0, 13
	v_lshrrev_b32_e32 v12, v2, v9
	s_delay_alu instid0(VALU_DEP_1) | instskip(NEXT) | instid1(VALU_DEP_1)
	v_lshlrev_b32_e32 v2, v2, v12
	v_cmp_ne_u32_e64 s0, v2, v9
	v_mad_co_u64_u32 v[9:10], null, s6, v8, 0
	s_wait_alu 0xf1ff
	s_delay_alu instid0(VALU_DEP_2) | instskip(SKIP_1) | instid1(VALU_DEP_2)
	v_cndmask_b32_e64 v2, 0, 1, s0
	v_cmp_ne_u32_e64 s0, 0, v4
	v_or_b32_e32 v11, v12, v2
	s_wait_alu 0xf1ff
	s_delay_alu instid0(VALU_DEP_2) | instskip(SKIP_3) | instid1(VALU_DEP_4)
	v_cndmask_b32_e64 v4, 0, 1, s0
	v_mul_f16_e32 v12, v65, v1
	v_mul_f64_e32 v[1:2], s[8:9], v[6:7]
	v_cmp_gt_i32_e64 s0, 1, v16
	v_and_or_b32 v17, 0xffe, v14, v4
	v_lshl_or_b32 v14, v16, 12, v13
	v_sub_nc_u32_e32 v4, 0x3f1, v15
	v_fma_f16 v0, v63, v0, -v12
	v_add_nc_u32_e32 v15, 0xfffffc10, v15
	v_or_b32_e32 v18, 0x1000, v17
	s_wait_alu 0xf1ff
	v_cndmask_b32_e64 v14, v14, v11, s0
	v_med3_i32 v4, v4, 0, 13
	v_cvt_f32_f16_e32 v6, v0
	v_mov_b32_e32 v0, v10
	ds_load_2addr_b32 v[11:12], v41 offset0:28 offset1:42
	v_and_b32_e32 v20, 7, v14
	v_lshrrev_b32_e32 v19, v4, v18
	v_cvt_f64_f32_e32 v[6:7], v6
	v_lshrrev_b32_e32 v10, 2, v14
	v_lshl_or_b32 v14, v15, 12, v17
	v_cmp_lt_i32_e64 s0, 5, v20
	v_cmp_eq_u32_e64 s1, 3, v20
	v_lshlrev_b32_e32 v4, v4, v19
	s_delay_alu instid0(VALU_DEP_2) | instskip(NEXT) | instid1(VALU_DEP_1)
	s_or_b32 s0, s1, s0
	v_cmp_ne_u32_e64 s2, v4, v18
	s_wait_alu 0xfffe
	v_add_co_ci_u32_e64 v10, s0, 0, v10, s0
	v_cmp_ne_u32_e64 s0, 0, v13
	s_wait_alu 0xf1ff
	v_cndmask_b32_e64 v4, 0, 1, s2
	s_delay_alu instid0(VALU_DEP_2) | instskip(SKIP_1) | instid1(VALU_DEP_3)
	v_cndmask_b32_e64 v13, 0, 1, s0
	v_cmp_gt_i32_e64 s0, 31, v16
	v_or_b32_e32 v4, v19, v4
	v_bfe_u32 v19, v2, 20, 11
	s_delay_alu instid0(VALU_DEP_4) | instskip(SKIP_4) | instid1(VALU_DEP_1)
	v_lshl_or_b32 v18, v13, 9, 0x7c00
	s_wait_alu 0xf1ff
	v_cndmask_b32_e64 v10, 0x7c00, v10, s0
	v_cmp_gt_i32_e64 s0, 1, v15
	s_wait_alu 0xf1ff
	v_cndmask_b32_e64 v4, v14, v4, s0
	v_mad_co_u64_u32 v[13:14], null, s7, v8, v[0:1]
	s_wait_dscnt 0x0
	v_lshrrev_b32_e32 v14, 16, v11
	v_cmp_eq_u32_e64 s0, 0x40f, v16
	v_lshrrev_b32_e32 v16, 16, v3
	v_and_or_b32 v1, 0x1ff, v2, v1
	v_and_b32_e32 v0, 7, v4
	v_mul_f16_e32 v3, v62, v14
	s_wait_alu 0xf1ff
	v_cndmask_b32_e64 v8, v10, v18, s0
	v_lshrrev_b32_e32 v18, 8, v2
	v_cmp_ne_u32_e64 s2, 0, v1
	v_cmp_lt_i32_e64 s0, 5, v0
	v_fmac_f16_e32 v3, v61, v11
	v_cmp_eq_u32_e64 s1, 3, v0
	v_lshrrev_b32_e32 v0, 2, v4
	s_wait_alu 0xf1ff
	v_cndmask_b32_e64 v10, 0, 1, s2
	v_mul_f16_e32 v11, v62, v11
	v_cvt_f32_f16_e32 v1, v3
	v_mul_f64_e32 v[3:4], s[8:9], v[6:7]
	s_or_b32 s0, s1, s0
	v_and_or_b32 v18, 0xffe, v18, v10
	s_wait_alu 0xfffe
	v_add_co_ci_u32_e64 v20, s0, 0, v0, s0
	v_sub_nc_u32_e32 v10, 0x3f1, v19
	v_cmp_ne_u32_e64 s0, 0, v17
	v_cvt_f64_f32_e32 v[0:1], v1
	v_or_b32_e32 v21, 0x1000, v18
	v_mad_co_u64_u32 v[6:7], null, s4, v58, 0
	s_wait_alu 0xf1ff
	v_cndmask_b32_e64 v17, 0, 1, s0
	v_med3_i32 v22, v10, 0, 13
	v_cmp_gt_i32_e64 s0, 31, v15
	v_mov_b32_e32 v10, v13
	v_and_or_b32 v16, 0x8000, v16, v8
	v_lshl_or_b32 v17, v17, 9, 0x7c00
	v_lshrrev_b32_e32 v13, v22, v21
	s_wait_alu 0xf1ff
	v_cndmask_b32_e64 v20, 0x7c00, v20, s0
	v_cmp_eq_u32_e64 s0, 0x40f, v15
	v_mad_co_u64_u32 v[7:8], null, s5, v58, v[7:8]
	v_fma_f16 v8, v61, v14, -v11
	s_mul_u64 s[6:7], s[4:5], 56
	s_delay_alu instid0(VALU_DEP_3) | instskip(SKIP_1) | instid1(VALU_DEP_3)
	v_cndmask_b32_e64 v15, v20, v17, s0
	v_lshlrev_b32_e32 v17, v22, v13
	v_cvt_f32_f16_e32 v8, v8
	s_delay_alu instid0(VALU_DEP_3) | instskip(NEXT) | instid1(VALU_DEP_3)
	v_and_or_b32 v5, 0x8000, v5, v15
	v_cmp_ne_u32_e64 s0, v17, v21
	v_add_nc_u32_e32 v17, 0xfffffc10, v19
	s_wait_alu 0xf1ff
	s_delay_alu instid0(VALU_DEP_2) | instskip(NEXT) | instid1(VALU_DEP_2)
	v_cndmask_b32_e64 v11, 0, 1, s0
	v_lshl_or_b32 v15, v17, 12, v18
	v_cmp_gt_i32_e64 s0, 1, v17
	v_and_or_b32 v3, 0x1ff, v4, v3
	v_lshrrev_b32_e32 v19, 8, v4
	v_or_b32_e32 v11, v13, v11
	v_cvt_f64_f32_e32 v[13:14], v8
	v_and_b32_e32 v8, 0xffff, v16
	v_bfe_u32 v20, v4, 20, 11
	v_lshrrev_b32_e32 v4, 16, v4
	s_wait_alu 0xf1ff
	v_cndmask_b32_e64 v11, v15, v11, s0
	v_cmp_ne_u32_e64 s0, 0, v3
	v_mul_f64_e32 v[15:16], s[8:9], v[0:1]
	v_lshl_or_b32 v21, v5, 16, v8
	v_sub_nc_u32_e32 v5, 0x3f1, v20
	v_lshlrev_b64_e32 v[0:1], 2, v[9:10]
	s_wait_alu 0xf1ff
	v_cndmask_b32_e64 v3, 0, 1, s0
	v_and_b32_e32 v8, 7, v11
	v_add_nc_u32_e32 v20, 0xfffffc10, v20
	v_med3_i32 v10, v5, 0, 13
	v_lshlrev_b64_e32 v[5:6], 2, v[6:7]
	v_and_or_b32 v3, 0xffe, v19, v3
	v_add_co_u32 v0, s0, s10, v0
	v_lshrrev_b32_e32 v7, 2, v11
	s_wait_alu 0xf1ff
	v_add_co_ci_u32_e64 v1, s0, s11, v1, s0
	v_or_b32_e32 v9, 0x1000, v3
	v_cmp_lt_i32_e64 s0, 5, v8
	v_cmp_eq_u32_e64 s1, 3, v8
	v_lshrrev_b32_e32 v19, 16, v12
	v_add_co_u32 v5, s2, v0, v5
	v_lshrrev_b32_e32 v11, v10, v9
	s_delay_alu instid0(VALU_DEP_4) | instskip(SKIP_2) | instid1(VALU_DEP_3)
	s_or_b32 s0, s1, s0
	v_add_co_ci_u32_e64 v6, s2, v1, v6, s2
	v_cmp_eq_u32_e64 s2, 0x40f, v17
	v_lshlrev_b32_e32 v8, v10, v11
	s_wait_alu 0xfffe
	v_add_co_ci_u32_e64 v10, s0, 0, v7, s0
	global_store_b32 v[5:6], v21, off
	v_cmp_ne_u32_e64 s0, v8, v9
	v_mul_f64_e32 v[7:8], s[8:9], v[13:14]
	v_mul_f16_e32 v13, v60, v19
	s_wait_alu 0xf1ff
	s_delay_alu instid0(VALU_DEP_3) | instskip(SKIP_1) | instid1(VALU_DEP_3)
	v_cndmask_b32_e64 v9, 0, 1, s0
	v_cmp_gt_i32_e64 s0, 31, v17
	v_fmac_f16_e32 v13, v59, v12
	v_bfe_u32 v22, v16, 20, 11
	s_delay_alu instid0(VALU_DEP_4)
	v_or_b32_e32 v9, v11, v9
	s_wait_alu 0xf1ff
	v_cndmask_b32_e64 v14, 0x7c00, v10, s0
	v_cmp_ne_u32_e64 s0, 0, v18
	v_lshl_or_b32 v10, v20, 12, v3
	v_and_or_b32 v11, 0x1ff, v16, v15
	s_wait_alu 0xf1ff
	s_delay_alu instid0(VALU_DEP_3) | instskip(SKIP_1) | instid1(VALU_DEP_2)
	v_cndmask_b32_e64 v15, 0, 1, s0
	v_cmp_gt_i32_e64 s0, 1, v20
	v_lshl_or_b32 v15, v15, 9, 0x7c00
	s_wait_alu 0xf1ff
	s_delay_alu instid0(VALU_DEP_2)
	v_cndmask_b32_e64 v18, v10, v9, s0
	v_cmp_ne_u32_e64 s0, 0, v11
	v_cvt_f32_f16_e32 v9, v13
	v_lshrrev_b32_e32 v13, 8, v16
	v_cndmask_b32_e64 v14, v14, v15, s2
	v_and_b32_e32 v23, 7, v18
	s_wait_alu 0xf1ff
	v_cndmask_b32_e64 v11, 0, 1, s0
	v_cvt_f64_f32_e32 v[9:10], v9
	v_lshrrev_b32_e32 v18, 2, v18
	v_lshrrev_b32_e32 v16, 16, v16
	v_cmp_lt_i32_e64 s0, 5, v23
	v_and_or_b32 v13, 0xffe, v13, v11
	v_sub_nc_u32_e32 v11, 0x3f1, v22
	v_cmp_eq_u32_e64 s1, 3, v23
	v_add_nc_u32_e32 v22, 0xfffffc10, v22
	s_delay_alu instid0(VALU_DEP_4) | instskip(NEXT) | instid1(VALU_DEP_4)
	v_or_b32_e32 v23, 0x1000, v13
	v_med3_i32 v11, v11, 0, 13
	s_delay_alu instid0(VALU_DEP_4)
	s_or_b32 s0, s1, s0
	v_and_or_b32 v7, 0x1ff, v8, v7
	s_wait_alu 0xfffe
	v_add_co_ci_u32_e64 v15, s0, 0, v18, s0
	v_lshrrev_b32_e32 v17, v11, v23
	v_cmp_gt_i32_e64 s0, 31, v20
	v_lshrrev_b32_e32 v18, 16, v2
	v_mul_f16_e32 v2, v60, v12
	s_delay_alu instid0(VALU_DEP_4)
	v_lshlrev_b32_e32 v11, v11, v17
	s_wait_alu 0xf1ff
	v_cndmask_b32_e64 v12, 0x7c00, v15, s0
	v_cmp_ne_u32_e64 s0, 0, v3
	v_fma_f16 v2, v59, v19, -v2
	v_lshrrev_b32_e32 v19, 8, v8
	s_wait_alu 0xf1ff
	s_delay_alu instid0(VALU_DEP_3)
	v_cndmask_b32_e64 v15, 0, 1, s0
	v_cmp_ne_u32_e64 s0, v11, v23
	v_bfe_u32 v23, v8, 20, 11
	v_cvt_f32_f16_e32 v2, v2
	v_lshrrev_b32_e32 v8, 16, v8
	v_lshl_or_b32 v15, v15, 9, 0x7c00
	s_wait_alu 0xf1ff
	v_cndmask_b32_e64 v11, 0, 1, s0
	v_cmp_ne_u32_e64 s0, 0, v7
	v_cvt_f64_f32_e32 v[2:3], v2
	s_delay_alu instid0(VALU_DEP_3) | instskip(SKIP_1) | instid1(VALU_DEP_3)
	v_or_b32_e32 v11, v17, v11
	s_wait_alu 0xf1ff
	v_cndmask_b32_e64 v7, 0, 1, s0
	v_lshl_or_b32 v17, v22, 12, v13
	v_cmp_gt_i32_e64 s0, 1, v22
	v_mul_f64_e32 v[9:10], s[8:9], v[9:10]
	s_delay_alu instid0(VALU_DEP_4)
	v_and_or_b32 v7, 0xffe, v19, v7
	v_sub_nc_u32_e32 v19, 0x3f1, v23
	s_wait_alu 0xf1ff
	v_cndmask_b32_e64 v17, v17, v11, s0
	v_cmp_eq_u32_e64 s0, 0x40f, v20
	v_add_nc_u32_e32 v20, 0xfffffc10, v23
	v_or_b32_e32 v24, 0x1000, v7
	v_med3_i32 v19, v19, 0, 13
	s_wait_alu 0xf1ff
	v_cndmask_b32_e64 v11, v12, v15, s0
	v_and_or_b32 v12, 0x8000, v18, v14
	v_and_b32_e32 v14, 7, v17
	v_lshrrev_b32_e32 v15, v19, v24
	s_delay_alu instid0(VALU_DEP_4) | instskip(NEXT) | instid1(VALU_DEP_3)
	v_and_or_b32 v4, 0x8000, v4, v11
	v_cmp_lt_i32_e64 s0, 5, v14
	s_delay_alu instid0(VALU_DEP_3)
	v_lshlrev_b32_e32 v18, v19, v15
	v_and_b32_e32 v19, 0xffff, v12
	ds_load_2addr_b32 v[11:12], v41 offset0:56 offset1:70
	v_cmp_ne_u32_e64 s1, v18, v24
	v_lshl_or_b32 v19, v4, 16, v19
	v_lshrrev_b32_e32 v4, 2, v17
	s_wait_alu 0xf1ff
	s_delay_alu instid0(VALU_DEP_3) | instskip(SKIP_2) | instid1(VALU_DEP_3)
	v_cndmask_b32_e64 v18, 0, 1, s1
	v_cmp_eq_u32_e64 s1, 3, v14
	v_mul_f64_e32 v[2:3], s[8:9], v[2:3]
	v_or_b32_e32 v14, v15, v18
	s_delay_alu instid0(VALU_DEP_3)
	s_or_b32 s0, s1, s0
	v_lshl_or_b32 v15, v20, 12, v7
	s_wait_alu 0xfffe
	v_add_co_ci_u32_e64 v4, s0, 0, v4, s0
	v_cmp_ne_u32_e64 s0, 0, v13
	v_and_or_b32 v9, 0x1ff, v10, v9
	s_wait_dscnt 0x0
	v_lshrrev_b32_e32 v17, 16, v11
	v_lshrrev_b32_e32 v18, 8, v10
	v_bfe_u32 v21, v10, 20, 11
	s_wait_alu 0xf1ff
	v_cndmask_b32_e64 v13, 0, 1, s0
	v_cmp_gt_i32_e64 s0, 1, v20
	v_cmp_ne_u32_e64 s1, 0, v9
	s_delay_alu instid0(VALU_DEP_3) | instskip(SKIP_1) | instid1(VALU_DEP_3)
	v_lshl_or_b32 v13, v13, 9, 0x7c00
	s_wait_alu 0xf1ff
	v_cndmask_b32_e64 v14, v15, v14, s0
	v_cmp_gt_i32_e64 s0, 31, v22
	v_cndmask_b32_e64 v9, 0, 1, s1
	s_delay_alu instid0(VALU_DEP_3) | instskip(SKIP_1) | instid1(VALU_DEP_3)
	v_and_b32_e32 v15, 7, v14
	s_wait_alu 0xf1ff
	v_cndmask_b32_e64 v4, 0x7c00, v4, s0
	v_cmp_eq_u32_e64 s0, 0x40f, v22
	v_lshrrev_b32_e32 v14, 2, v14
	v_and_or_b32 v9, 0xffe, v18, v9
	v_cmp_eq_u32_e64 s1, 3, v15
	s_wait_alu 0xf1ff
	v_cndmask_b32_e64 v4, v4, v13, s0
	v_mul_f16_e32 v13, v57, v17
	v_cmp_lt_i32_e64 s0, 5, v15
	v_sub_nc_u32_e32 v15, 0x3f1, v21
	v_or_b32_e32 v22, 0x1000, v9
	v_and_or_b32 v4, 0x8000, v16, v4
	v_fmac_f16_e32 v13, v56, v11
	s_or_b32 s0, s1, s0
	v_med3_i32 v15, v15, 0, 13
	s_wait_alu 0xfffe
	v_add_co_ci_u32_e64 v18, s0, 0, v14, s0
	v_cvt_f32_f16_e32 v13, v13
	v_cmp_ne_u32_e64 s0, 0, v7
	v_lshrrev_b32_e32 v23, v15, v22
	v_mul_f16_e32 v11, v57, v11
	v_and_or_b32 v2, 0x1ff, v3, v2
	v_cvt_f64_f32_e32 v[13:14], v13
	s_wait_alu 0xf1ff
	v_cndmask_b32_e64 v7, 0, 1, s0
	v_cmp_gt_i32_e64 s0, 31, v20
	v_lshlrev_b32_e32 v15, v15, v23
	v_fma_f16 v11, v56, v17, -v11
	v_add_nc_u32_e32 v17, 0xfffffc10, v21
	v_lshl_or_b32 v7, v7, 9, 0x7c00
	s_wait_alu 0xf1ff
	v_cndmask_b32_e64 v18, 0x7c00, v18, s0
	v_cmp_eq_u32_e64 s0, 0x40f, v20
	v_cvt_f32_f16_e32 v11, v11
	v_bfe_u32 v20, v3, 20, 11
	s_wait_alu 0xf1ff
	s_delay_alu instid0(VALU_DEP_3)
	v_cndmask_b32_e64 v7, v18, v7, s0
	v_cmp_ne_u32_e64 s0, v15, v22
	v_lshrrev_b32_e32 v18, 8, v3
	v_lshl_or_b32 v22, v17, 12, v9
	v_lshrrev_b32_e32 v3, 16, v3
	s_wait_alu 0xf1ff
	v_cndmask_b32_e64 v15, 0, 1, s0
	v_cmp_ne_u32_e64 s0, 0, v2
	s_delay_alu instid0(VALU_DEP_2) | instskip(SKIP_1) | instid1(VALU_DEP_2)
	v_or_b32_e32 v21, v23, v15
	s_wait_alu 0xf1ff
	v_cndmask_b32_e64 v2, 0, 1, s0
	v_cvt_f64_f32_e32 v[15:16], v11
	v_cmp_gt_i32_e64 s0, 1, v17
	v_sub_nc_u32_e32 v11, 0x3f1, v20
	v_and_b32_e32 v23, 0xffff, v4
	v_and_or_b32 v2, 0xffe, v18, v2
	s_wait_alu 0xf1ff
	v_cndmask_b32_e64 v18, v22, v21, s0
	v_med3_i32 v11, v11, 0, 13
	v_add_co_u32 v4, s0, v5, s6
	v_or_b32_e32 v21, 0x1000, v2
	s_delay_alu instid0(VALU_DEP_4)
	v_and_b32_e32 v24, 7, v18
	s_wait_alu 0xf1ff
	v_add_co_ci_u32_e64 v5, s0, s7, v6, s0
	v_and_or_b32 v22, 0x8000, v8, v7
	v_lshrrev_b32_e32 v25, v11, v21
	v_mul_f64_e32 v[7:8], s[8:9], v[13:14]
	v_cmp_lt_i32_e64 s0, 5, v24
	v_cmp_eq_u32_e64 s1, 3, v24
	v_lshl_or_b32 v22, v22, 16, v23
	v_lshlrev_b32_e32 v6, v11, v25
	v_lshrrev_b32_e32 v11, 2, v18
	v_add_nc_u32_e32 v18, 0xfffffc10, v20
	s_or_b32 s0, s1, s0
	s_delay_alu instid0(VALU_DEP_3)
	v_cmp_ne_u32_e64 s2, v6, v21
	s_wait_alu 0xfffe
	v_add_co_ci_u32_e64 v11, s0, 0, v11, s0
	v_cmp_ne_u32_e64 s0, 0, v9
	v_lshl_or_b32 v13, v18, 12, v2
	s_wait_alu 0xf1ff
	v_cndmask_b32_e64 v6, 0, 1, s2
	s_delay_alu instid0(VALU_DEP_3) | instskip(SKIP_1) | instid1(VALU_DEP_3)
	v_cndmask_b32_e64 v9, 0, 1, s0
	v_cmp_gt_i32_e64 s0, 31, v17
	v_or_b32_e32 v6, v25, v6
	s_delay_alu instid0(VALU_DEP_3) | instskip(SKIP_1) | instid1(VALU_DEP_3)
	v_lshl_or_b32 v9, v9, 9, 0x7c00
	s_wait_alu 0xf1ff
	v_cndmask_b32_e64 v11, 0x7c00, v11, s0
	v_cmp_gt_i32_e64 s0, 1, v18
	s_wait_alu 0xf1ff
	s_delay_alu instid0(VALU_DEP_1)
	v_cndmask_b32_e64 v6, v13, v6, s0
	v_mul_f64_e32 v[13:14], s[8:9], v[15:16]
	v_lshrrev_b32_e32 v15, 16, v12
	v_cmp_eq_u32_e64 s0, 0x40f, v17
	v_lshrrev_b32_e32 v16, 16, v10
	v_and_b32_e32 v17, 7, v6
	s_delay_alu instid0(VALU_DEP_4)
	v_mul_f16_e32 v20, v55, v15
	s_wait_alu 0xf1ff
	v_cndmask_b32_e64 v11, v11, v9, s0
	v_and_or_b32 v7, 0x1ff, v8, v7
	v_add_co_u32 v9, s0, v4, s6
	v_fmac_f16_e32 v20, v54, v12
	s_delay_alu instid0(VALU_DEP_4)
	v_and_or_b32 v16, 0x8000, v16, v11
	s_wait_alu 0xf1ff
	v_add_co_ci_u32_e64 v10, s0, s7, v5, s0
	v_cmp_lt_i32_e64 s0, 5, v17
	v_cvt_f32_f16_e32 v11, v20
	v_cmp_eq_u32_e64 s1, 3, v17
	v_lshrrev_b32_e32 v17, 2, v6
	v_cmp_ne_u32_e64 s2, 0, v7
	v_lshrrev_b32_e32 v21, 8, v8
	v_cvt_f64_f32_e32 v[6:7], v11
	v_bfe_u32 v23, v8, 20, 11
	s_or_b32 s0, s1, s0
	v_cndmask_b32_e64 v20, 0, 1, s2
	s_wait_alu 0xfffe
	v_add_co_ci_u32_e64 v11, s0, 0, v17, s0
	v_mul_f16_e32 v12, v55, v12
	v_cmp_ne_u32_e64 s0, 0, v2
	v_and_or_b32 v17, 0xffe, v21, v20
	v_sub_nc_u32_e32 v20, 0x3f1, v23
	v_lshrrev_b32_e32 v8, 16, v8
	v_fma_f16 v12, v54, v15, -v12
	s_wait_alu 0xf1ff
	v_cndmask_b32_e64 v2, 0, 1, s0
	v_cmp_gt_i32_e64 s0, 31, v18
	v_or_b32_e32 v21, 0x1000, v17
	v_med3_i32 v15, v20, 0, 13
	v_cvt_f32_f16_e32 v12, v12
	v_lshl_or_b32 v2, v2, 9, 0x7c00
	s_wait_alu 0xf1ff
	v_cndmask_b32_e64 v11, 0x7c00, v11, s0
	v_cmp_eq_u32_e64 s0, 0x40f, v18
	v_lshrrev_b32_e32 v20, v15, v21
	v_and_or_b32 v13, 0x1ff, v14, v13
	v_lshrrev_b32_e32 v18, 8, v14
	v_bfe_u32 v24, v14, 20, 11
	s_wait_alu 0xf1ff
	v_cndmask_b32_e64 v2, v11, v2, s0
	v_cvt_f64_f32_e32 v[11:12], v12
	v_lshlrev_b32_e32 v15, v15, v20
	v_cmp_ne_u32_e64 s0, 0, v13
	v_and_b32_e32 v16, 0xffff, v16
	v_lshrrev_b32_e32 v14, 16, v14
	s_wait_alu 0xf1ff
	s_delay_alu instid0(VALU_DEP_3) | instskip(SKIP_3) | instid1(VALU_DEP_4)
	v_cndmask_b32_e64 v13, 0, 1, s0
	v_cmp_ne_u32_e64 s0, v15, v21
	v_add_nc_u32_e32 v21, 0xfffffc10, v23
	v_and_or_b32 v23, 0x8000, v3, v2
	v_and_or_b32 v13, 0xffe, v18, v13
	s_wait_alu 0xf1ff
	v_cndmask_b32_e64 v15, 0, 1, s0
	v_sub_nc_u32_e32 v18, 0x3f1, v24
	v_mul_f64_e32 v[2:3], s[8:9], v[6:7]
	v_cmp_gt_i32_e64 s0, 1, v21
	v_or_b32_e32 v25, 0x1000, v13
	v_or_b32_e32 v15, v20, v15
	v_lshl_or_b32 v20, v21, 12, v17
	v_med3_i32 v18, v18, 0, 13
	ds_load_2addr_b32 v[6:7], v41 offset0:84 offset1:98
	s_clause 0x1
	global_store_b32 v[4:5], v19, off
	global_store_b32 v[9:10], v22, off
	v_lshl_or_b32 v16, v23, 16, v16
	s_wait_alu 0xf1ff
	v_cndmask_b32_e64 v15, v20, v15, s0
	v_lshrrev_b32_e32 v20, v18, v25
	v_add_co_u32 v4, s0, v9, s6
	s_wait_alu 0xf1ff
	v_add_co_ci_u32_e64 v5, s0, s7, v10, s0
	v_and_b32_e32 v19, 7, v15
	v_lshlrev_b32_e32 v18, v18, v20
	v_lshrrev_b32_e32 v15, 2, v15
	global_store_b32 v[4:5], v16, off
	v_cmp_lt_i32_e64 s0, 5, v19
	v_cmp_eq_u32_e64 s1, 3, v19
	v_cmp_ne_u32_e64 s2, v18, v25
	v_mul_f64_e32 v[9:10], s[8:9], v[11:12]
	v_add_nc_u32_e32 v19, 0xfffffc10, v24
	s_delay_alu instid0(VALU_DEP_4) | instskip(NEXT) | instid1(VALU_DEP_3)
	s_or_b32 s0, s1, s0
	v_cndmask_b32_e64 v18, 0, 1, s2
	s_wait_alu 0xfffe
	v_add_co_ci_u32_e64 v11, s0, 0, v15, s0
	s_wait_dscnt 0x0
	v_lshrrev_b32_e32 v22, 16, v6
	v_cmp_ne_u32_e64 s0, 0, v17
	v_or_b32_e32 v12, v20, v18
	v_lshl_or_b32 v15, v19, 12, v13
	s_delay_alu instid0(VALU_DEP_4)
	v_mul_f16_e32 v18, v53, v22
	s_wait_alu 0xf1ff
	v_cndmask_b32_e64 v17, 0, 1, s0
	v_cmp_gt_i32_e64 s0, 1, v19
	v_and_or_b32 v2, 0x1ff, v3, v2
	v_fmac_f16_e32 v18, v52, v6
	v_mul_f16_e32 v6, v53, v6
	s_wait_alu 0xf1ff
	v_cndmask_b32_e64 v15, v15, v12, s0
	v_cmp_gt_i32_e64 s0, 31, v21
	v_lshl_or_b32 v12, v17, 9, 0x7c00
	v_cvt_f32_f16_e32 v18, v18
	v_cmp_ne_u32_e64 s1, 0, v2
	v_and_b32_e32 v17, 7, v15
	s_wait_alu 0xf1ff
	v_cndmask_b32_e64 v11, 0x7c00, v11, s0
	v_cmp_eq_u32_e64 s0, 0x40f, v21
	v_bfe_u32 v21, v3, 20, 11
	v_cndmask_b32_e64 v2, 0, 1, s1
	v_cmp_eq_u32_e64 s1, 3, v17
	v_fma_f16 v6, v52, v22, -v6
	s_wait_alu 0xf1ff
	v_cndmask_b32_e64 v20, v11, v12, s0
	v_cvt_f64_f32_e32 v[11:12], v18
	v_cmp_lt_i32_e64 s0, 5, v17
	v_lshrrev_b32_e32 v18, 8, v3
	v_cvt_f32_f16_e32 v6, v6
	v_and_or_b32 v17, 0x8000, v8, v20
	v_lshrrev_b32_e32 v8, 2, v15
	v_sub_nc_u32_e32 v15, 0x3f1, v21
	v_and_or_b32 v2, 0xffe, v18, v2
	s_or_b32 s0, s1, s0
	v_and_or_b32 v9, 0x1ff, v10, v9
	s_wait_alu 0xfffe
	v_add_co_ci_u32_e64 v8, s0, 0, v8, s0
	v_cmp_gt_i32_e64 s0, 31, v19
	v_or_b32_e32 v18, 0x1000, v2
	v_med3_i32 v15, v15, 0, 13
	v_lshrrev_b32_e32 v23, 8, v10
	v_bfe_u32 v24, v10, 20, 11
	s_wait_alu 0xf1ff
	v_cndmask_b32_e64 v20, 0x7c00, v8, s0
	v_cmp_ne_u32_e64 s0, 0, v13
	v_lshrrev_b32_e32 v13, v15, v18
	v_and_b32_e32 v16, 0xffff, v17
	s_wait_alu 0xf1ff
	s_delay_alu instid0(VALU_DEP_3) | instskip(SKIP_2) | instid1(VALU_DEP_3)
	v_cndmask_b32_e64 v8, 0, 1, s0
	v_cmp_ne_u32_e64 s0, 0, v9
	v_lshlrev_b32_e32 v15, v15, v13
	v_lshl_or_b32 v25, v8, 9, 0x7c00
	s_wait_alu 0xf1ff
	s_delay_alu instid0(VALU_DEP_3) | instskip(NEXT) | instid1(VALU_DEP_3)
	v_cndmask_b32_e64 v9, 0, 1, s0
	v_cmp_ne_u32_e64 s0, v15, v18
	v_sub_nc_u32_e32 v8, 0x3f1, v24
	v_add_nc_u32_e32 v15, 0xfffffc10, v21
	s_delay_alu instid0(VALU_DEP_4)
	v_and_or_b32 v23, 0xffe, v23, v9
	s_wait_alu 0xf1ff
	v_cndmask_b32_e64 v9, 0, 1, s0
	v_med3_i32 v21, v8, 0, 13
	v_cmp_eq_u32_e64 s0, 0x40f, v19
	v_lshl_or_b32 v22, v15, 12, v2
	v_or_b32_e32 v18, 0x1000, v23
	v_or_b32_e32 v13, v13, v9
	v_mul_f64_e32 v[8:9], s[8:9], v[11:12]
	v_cvt_f64_f32_e32 v[11:12], v6
	s_wait_alu 0xf1ff
	v_cndmask_b32_e64 v19, v20, v25, s0
	v_lshrrev_b32_e32 v6, v21, v18
	v_cmp_gt_i32_e64 s0, 1, v15
	s_delay_alu instid0(VALU_DEP_3) | instskip(NEXT) | instid1(VALU_DEP_3)
	v_and_or_b32 v14, 0x8000, v14, v19
	v_lshlrev_b32_e32 v20, v21, v6
	s_wait_alu 0xf1ff
	s_delay_alu instid0(VALU_DEP_3)
	v_cndmask_b32_e64 v13, v22, v13, s0
	v_add_nc_u32_e32 v19, 0xfffffc10, v24
	v_lshrrev_b32_e32 v22, 16, v3
	v_lshl_or_b32 v16, v14, 16, v16
	v_cmp_ne_u32_e64 s0, v20, v18
	v_and_b32_e32 v17, 7, v13
	v_lshrrev_b32_e32 v13, 2, v13
	v_lshrrev_b32_e32 v20, 16, v7
	v_lshl_or_b32 v14, v19, 12, v23
	s_wait_alu 0xf1ff
	v_cndmask_b32_e64 v18, 0, 1, s0
	v_cmp_lt_i32_e64 s0, 5, v17
	v_cmp_eq_u32_e64 s1, 3, v17
	v_mul_f16_e32 v17, v51, v20
	v_cmp_gt_i32_e64 s2, 1, v19
	v_or_b32_e32 v6, v6, v18
	s_delay_alu instid0(VALU_DEP_4) | instskip(NEXT) | instid1(VALU_DEP_3)
	s_or_b32 s0, s1, s0
	v_fmac_f16_e32 v17, v49, v7
	s_wait_alu 0xfffe
	v_add_co_ci_u32_e64 v13, s0, 0, v13, s0
	v_cmp_ne_u32_e64 s0, 0, v2
	v_cndmask_b32_e64 v6, v14, v6, s2
	s_wait_alu 0xf1ff
	s_delay_alu instid0(VALU_DEP_2) | instskip(SKIP_1) | instid1(VALU_DEP_3)
	v_cndmask_b32_e64 v2, 0, 1, s0
	v_cmp_gt_i32_e64 s0, 31, v15
	v_and_b32_e32 v18, 7, v6
	v_and_or_b32 v8, 0x1ff, v9, v8
	v_mul_f64_e32 v[11:12], s[8:9], v[11:12]
	s_wait_alu 0xf1ff
	v_cndmask_b32_e64 v21, 0x7c00, v13, s0
	v_cvt_f32_f16_e32 v13, v17
	v_lshl_or_b32 v2, v2, 9, 0x7c00
	v_cmp_ne_u32_e64 s2, 0, v8
	v_cmp_lt_i32_e64 s0, 5, v18
	v_cmp_eq_u32_e64 s1, 3, v18
	v_cvt_f64_f32_e32 v[13:14], v13
	v_lshrrev_b32_e32 v17, 8, v9
	s_wait_alu 0xf1ff
	v_cndmask_b32_e64 v8, 0, 1, s2
	v_cmp_eq_u32_e64 s2, 0x40f, v15
	v_bfe_u32 v18, v9, 20, 11
	s_or_b32 s0, s1, s0
	s_delay_alu instid0(VALU_DEP_3) | instskip(NEXT) | instid1(VALU_DEP_3)
	v_and_or_b32 v8, 0xffe, v17, v8
	v_cndmask_b32_e64 v15, v21, v2, s2
	v_lshrrev_b32_e32 v2, 2, v6
	v_sub_nc_u32_e32 v6, 0x3f1, v18
	v_add_nc_u32_e32 v18, 0xfffffc10, v18
	v_or_b32_e32 v21, 0x1000, v8
	v_and_or_b32 v15, 0x8000, v22, v15
	s_wait_alu 0xfffe
	v_add_co_ci_u32_e64 v2, s0, 0, v2, s0
	v_cmp_ne_u32_e64 s0, 0, v23
	v_med3_i32 v6, v6, 0, 13
	v_and_b32_e32 v15, 0xffff, v15
	s_wait_alu 0xf1ff
	s_delay_alu instid0(VALU_DEP_3) | instskip(SKIP_2) | instid1(VALU_DEP_3)
	v_cndmask_b32_e64 v17, 0, 1, s0
	v_cmp_gt_i32_e64 s0, 31, v19
	v_lshrrev_b32_e32 v24, v6, v21
	v_lshl_or_b32 v17, v17, 9, 0x7c00
	s_wait_alu 0xf1ff
	s_delay_alu instid0(VALU_DEP_3)
	v_cndmask_b32_e64 v23, 0x7c00, v2, s0
	v_add_co_u32 v2, s0, v4, s6
	s_wait_alu 0xf1ff
	v_add_co_ci_u32_e64 v3, s0, s7, v5, s0
	v_lshlrev_b32_e32 v4, v6, v24
	v_cmp_eq_u32_e64 s0, 0x40f, v19
	v_mul_f16_e32 v5, v51, v7
	v_lshrrev_b32_e32 v19, 16, v10
	v_and_or_b32 v10, 0x1ff, v12, v11
	v_bfe_u32 v22, v12, 20, 11
	s_wait_alu 0xf1ff
	v_cndmask_b32_e64 v17, v23, v17, s0
	v_cmp_ne_u32_e64 s0, v4, v21
	v_fma_f16 v7, v49, v20, -v5
	v_mul_f64_e32 v[4:5], s[8:9], v[13:14]
	v_lshl_or_b32 v14, v18, 12, v8
	v_lshrrev_b32_e32 v21, 8, v12
	s_wait_alu 0xf1ff
	v_cndmask_b32_e64 v6, 0, 1, s0
	v_cmp_ne_u32_e64 s0, 0, v10
	ds_load_2addr_b32 v[10:11], v41 offset0:112 offset1:126
	v_and_or_b32 v17, 0x8000, v19, v17
	global_store_b32 v[2:3], v16, off
	v_or_b32_e32 v13, v24, v6
	s_wait_alu 0xf1ff
	v_cndmask_b32_e64 v20, 0, 1, s0
	v_cmp_gt_i32_e64 s0, 1, v18
	v_cvt_f32_f16_e32 v6, v7
	v_lshl_or_b32 v15, v17, 16, v15
	v_add_co_u32 v2, s2, v2, s6
	s_wait_alu 0xf1ff
	v_cndmask_b32_e64 v13, v14, v13, s0
	v_and_or_b32 v20, 0xffe, v21, v20
	v_sub_nc_u32_e32 v14, 0x3f1, v22
	v_cvt_f64_f32_e32 v[6:7], v6
	v_add_co_ci_u32_e64 v3, s2, s7, v3, s2
	s_delay_alu instid0(VALU_DEP_4) | instskip(NEXT) | instid1(VALU_DEP_4)
	v_or_b32_e32 v21, 0x1000, v20
	v_med3_i32 v14, v14, 0, 13
	v_and_b32_e32 v19, 7, v13
	v_lshrrev_b32_e32 v13, 2, v13
	s_wait_dscnt 0x0
	v_lshrrev_b32_e32 v17, 16, v10
	v_lshrrev_b32_e32 v12, 16, v12
	;; [unrolled: 1-line block ×3, first 2 shown]
	v_cmp_lt_i32_e64 s0, 5, v19
	v_cmp_eq_u32_e64 s1, 3, v19
	global_store_b32 v[2:3], v15, off
	v_lshlrev_b32_e32 v14, v14, v16
	s_or_b32 s0, s1, s0
	s_wait_alu 0xfffe
	v_add_co_ci_u32_e64 v19, s0, 0, v13, s0
	s_delay_alu instid0(VALU_DEP_2)
	v_cmp_ne_u32_e64 s0, v14, v21
	v_and_or_b32 v4, 0x1ff, v5, v4
	v_mul_f16_e32 v13, v50, v17
	v_add_nc_u32_e32 v21, 0xfffffc10, v22
	v_lshrrev_b32_e32 v23, 8, v5
	s_wait_alu 0xf1ff
	v_cndmask_b32_e64 v14, 0, 1, s0
	v_cmp_ne_u32_e64 s0, 0, v8
	v_fmac_f16_e32 v13, v48, v10
	v_lshl_or_b32 v22, v21, 12, v20
	v_bfe_u32 v24, v5, 20, 11
	v_or_b32_e32 v16, v16, v14
	s_wait_alu 0xf1ff
	v_cndmask_b32_e64 v8, 0, 1, s0
	v_cmp_ne_u32_e64 s0, 0, v4
	v_cvt_f32_f16_e32 v13, v13
	v_mul_f16_e32 v10, v50, v10
	v_lshrrev_b32_e32 v5, 16, v5
	v_lshl_or_b32 v8, v8, 9, 0x7c00
	s_wait_alu 0xf1ff
	v_cndmask_b32_e64 v4, 0, 1, s0
	v_cmp_gt_i32_e64 s0, 1, v21
	v_mul_f64_e32 v[6:7], s[8:9], v[6:7]
	v_cvt_f64_f32_e32 v[13:14], v13
	s_delay_alu instid0(VALU_DEP_4)
	v_and_or_b32 v4, 0xffe, v23, v4
	s_wait_alu 0xf1ff
	v_cndmask_b32_e64 v16, v22, v16, s0
	v_cmp_gt_i32_e64 s0, 31, v18
	v_sub_nc_u32_e32 v22, 0x3f1, v24
	v_or_b32_e32 v25, 0x1000, v4
	s_delay_alu instid0(VALU_DEP_4)
	v_and_b32_e32 v23, 7, v16
	s_wait_alu 0xf1ff
	v_cndmask_b32_e64 v19, 0x7c00, v19, s0
	v_cmp_eq_u32_e64 s0, 0x40f, v18
	v_med3_i32 v22, v22, 0, 13
	v_cmp_eq_u32_e64 s1, 3, v23
	s_wait_alu 0xf1ff
	s_delay_alu instid0(VALU_DEP_3)
	v_cndmask_b32_e64 v18, v19, v8, s0
	v_cmp_lt_i32_e64 s0, 5, v23
	v_fma_f16 v8, v48, v17, -v10
	v_lshrrev_b32_e32 v10, 16, v9
	v_lshrrev_b32_e32 v9, 2, v16
	;; [unrolled: 1-line block ×3, first 2 shown]
	s_or_b32 s0, s1, s0
	v_cvt_f32_f16_e32 v8, v8
	v_and_or_b32 v10, 0x8000, v10, v18
	s_wait_alu 0xfffe
	v_add_co_ci_u32_e64 v17, s0, 0, v9, s0
	v_lshlrev_b32_e32 v16, v22, v19
	v_cmp_ne_u32_e64 s0, 0, v20
	v_cvt_f64_f32_e32 v[8:9], v8
	v_add_nc_u32_e32 v22, 0xfffffc10, v24
	v_and_b32_e32 v10, 0xffff, v10
	s_wait_alu 0xf1ff
	v_cndmask_b32_e64 v20, 0, 1, s0
	v_cmp_ne_u32_e64 s0, v16, v25
	s_delay_alu instid0(VALU_DEP_2) | instskip(SKIP_1) | instid1(VALU_DEP_2)
	v_lshl_or_b32 v20, v20, 9, 0x7c00
	s_wait_alu 0xf1ff
	v_cndmask_b32_e64 v16, 0, 1, s0
	v_cmp_gt_i32_e64 s0, 31, v21
	v_and_or_b32 v6, 0x1ff, v7, v6
	v_mul_f64_e32 v[13:14], s[8:9], v[13:14]
	s_delay_alu instid0(VALU_DEP_4)
	v_or_b32_e32 v16, v19, v16
	s_wait_alu 0xf1ff
	v_cndmask_b32_e64 v17, 0x7c00, v17, s0
	v_cmp_eq_u32_e64 s0, 0x40f, v21
	v_lshl_or_b32 v19, v22, 12, v4
	s_wait_alu 0xf1ff
	s_delay_alu instid0(VALU_DEP_2) | instskip(SKIP_2) | instid1(VALU_DEP_3)
	v_cndmask_b32_e64 v17, v17, v20, s0
	v_cmp_gt_i32_e64 s0, 1, v22
	v_bfe_u32 v20, v7, 20, 11
	v_and_or_b32 v12, 0x8000, v12, v17
	s_wait_alu 0xf1ff
	s_delay_alu instid0(VALU_DEP_3) | instskip(SKIP_3) | instid1(VALU_DEP_4)
	v_cndmask_b32_e64 v16, v19, v16, s0
	v_cmp_ne_u32_e64 s0, 0, v6
	v_lshrrev_b32_e32 v19, 8, v7
	v_lshrrev_b32_e32 v7, 16, v7
	v_and_b32_e32 v18, 7, v16
	s_wait_alu 0xf1ff
	v_cndmask_b32_e64 v6, 0, 1, s0
	v_lshrrev_b32_e32 v15, 2, v16
	v_add_nc_u32_e32 v16, 0xfffffc10, v20
	v_cmp_lt_i32_e64 s0, 5, v18
	v_cmp_eq_u32_e64 s1, 3, v18
	v_and_or_b32 v6, 0xffe, v19, v6
	v_sub_nc_u32_e32 v19, 0x3f1, v20
	v_lshl_or_b32 v18, v12, 16, v10
	v_mul_f64_e32 v[8:9], s[8:9], v[8:9]
	s_or_b32 s0, s1, s0
	v_or_b32_e32 v17, 0x1000, v6
	v_med3_i32 v19, v19, 0, 13
	s_wait_alu 0xfffe
	v_add_co_ci_u32_e64 v12, s0, 0, v15, s0
	v_cmp_ne_u32_e64 s0, 0, v4
	s_delay_alu instid0(VALU_DEP_3) | instskip(SKIP_2) | instid1(VALU_DEP_3)
	v_lshrrev_b32_e32 v10, v19, v17
	v_and_or_b32 v13, 0x1ff, v14, v13
	s_wait_alu 0xf1ff
	v_cndmask_b32_e64 v4, 0, 1, s0
	v_add_co_u32 v2, s0, v2, s6
	s_wait_alu 0xf1ff
	v_add_co_ci_u32_e64 v3, s0, s7, v3, s0
	v_lshlrev_b32_e32 v15, v19, v10
	v_cmp_gt_i32_e64 s0, 31, v22
	v_lshl_or_b32 v4, v4, 9, 0x7c00
	v_bfe_u32 v19, v14, 20, 11
	global_store_b32 v[2:3], v18, off
	s_wait_alu 0xf1ff
	v_cndmask_b32_e64 v12, 0x7c00, v12, s0
	v_cmp_ne_u32_e64 s0, v15, v17
	v_lshrrev_b32_e32 v17, 8, v14
	v_lshrrev_b32_e32 v14, 16, v14
	s_wait_alu 0xf1ff
	s_delay_alu instid0(VALU_DEP_3) | instskip(SKIP_1) | instid1(VALU_DEP_2)
	v_cndmask_b32_e64 v15, 0, 1, s0
	v_cmp_eq_u32_e64 s0, 0x40f, v22
	v_or_b32_e32 v10, v10, v15
	s_wait_alu 0xf1ff
	s_delay_alu instid0(VALU_DEP_2)
	v_cndmask_b32_e64 v4, v12, v4, s0
	v_cmp_ne_u32_e64 s0, 0, v13
	v_lshl_or_b32 v12, v16, 12, v6
	v_lshrrev_b32_e32 v15, 16, v11
	v_and_or_b32 v8, 0x1ff, v9, v8
	v_and_or_b32 v21, 0x8000, v5, v4
	s_wait_alu 0xf1ff
	v_cndmask_b32_e64 v13, 0, 1, s0
	v_cmp_gt_i32_e64 s0, 1, v16
	v_bfe_u32 v23, v9, 20, 11
	s_delay_alu instid0(VALU_DEP_3) | instskip(SKIP_1) | instid1(VALU_DEP_3)
	v_and_or_b32 v17, 0xffe, v17, v13
	s_wait_alu 0xf1ff
	v_cndmask_b32_e64 v10, v12, v10, s0
	v_mul_f16_e32 v12, v47, v15
	v_sub_nc_u32_e32 v13, 0x3f1, v19
	v_add_nc_u32_e32 v19, 0xfffffc10, v19
	v_or_b32_e32 v22, 0x1000, v17
	v_and_b32_e32 v20, 7, v10
	v_fmac_f16_e32 v12, v46, v11
	v_med3_i32 v13, v13, 0, 13
	v_lshrrev_b32_e32 v10, 2, v10
	v_mul_f16_e32 v11, v47, v11
	v_cmp_lt_i32_e64 s0, 5, v20
	v_cmp_eq_u32_e64 s1, 3, v20
	v_cvt_f32_f16_e32 v4, v12
	v_lshrrev_b32_e32 v12, v13, v22
	v_lshrrev_b32_e32 v20, 8, v9
	v_fma_f16 v11, v46, v15, -v11
	s_or_b32 s0, s1, s0
	v_cvt_f64_f32_e32 v[4:5], v4
	s_wait_alu 0xfffe
	v_add_co_ci_u32_e64 v10, s0, 0, v10, s0
	v_cmp_ne_u32_e64 s0, 0, v8
	v_lshlrev_b32_e32 v13, v13, v12
	v_cvt_f32_f16_e32 v11, v11
	s_wait_alu 0xf1ff
	s_delay_alu instid0(VALU_DEP_3) | instskip(NEXT) | instid1(VALU_DEP_3)
	v_cndmask_b32_e64 v8, 0, 1, s0
	v_cmp_ne_u32_e64 s0, v13, v22
	s_delay_alu instid0(VALU_DEP_2) | instskip(SKIP_2) | instid1(VALU_DEP_3)
	v_and_or_b32 v8, 0xffe, v20, v8
	v_sub_nc_u32_e32 v20, 0x3f1, v23
	s_wait_alu 0xf1ff
	v_cndmask_b32_e64 v13, 0, 1, s0
	v_cmp_ne_u32_e64 s0, 0, v6
	v_or_b32_e32 v22, 0x1000, v8
	v_med3_i32 v20, v20, 0, 13
	s_delay_alu instid0(VALU_DEP_4)
	v_or_b32_e32 v12, v12, v13
	v_lshl_or_b32 v13, v19, 12, v17
	s_wait_alu 0xf1ff
	v_cndmask_b32_e64 v6, 0, 1, s0
	v_cmp_gt_i32_e64 s0, 1, v19
	v_lshrrev_b32_e32 v24, v20, v22
	s_delay_alu instid0(VALU_DEP_3) | instskip(SKIP_1) | instid1(VALU_DEP_3)
	v_lshl_or_b32 v6, v6, 9, 0x7c00
	s_wait_alu 0xf1ff
	v_cndmask_b32_e64 v15, v13, v12, s0
	v_cmp_gt_i32_e64 s0, 31, v16
	v_lshlrev_b32_e32 v20, v20, v24
	ds_load_2addr_b32 v[12:13], v41 offset0:140 offset1:154
	v_and_b32_e32 v26, 7, v15
	s_wait_alu 0xf1ff
	v_cndmask_b32_e64 v25, 0x7c00, v10, s0
	v_cmp_eq_u32_e64 s0, 0x40f, v16
	v_cmp_ne_u32_e64 s1, v20, v22
	v_cvt_f64_f32_e32 v[10:11], v11
	v_mul_f64_e32 v[4:5], s[8:9], v[4:5]
	v_add_nc_u32_e32 v20, 0xfffffc10, v23
	s_wait_alu 0xf1ff
	v_cndmask_b32_e64 v6, v25, v6, s0
	v_cmp_lt_i32_e64 s0, 5, v26
	v_cndmask_b32_e64 v16, 0, 1, s1
	v_cmp_eq_u32_e64 s1, 3, v26
	v_lshrrev_b32_e32 v25, 16, v9
	v_and_or_b32 v6, 0x8000, v7, v6
	v_lshrrev_b32_e32 v7, 2, v15
	v_or_b32_e32 v15, v24, v16
	s_or_b32 s0, s1, s0
	v_lshl_or_b32 v16, v20, 12, v8
	s_wait_alu 0xfffe
	v_add_co_ci_u32_e64 v7, s0, 0, v7, s0
	v_cmp_ne_u32_e64 s0, 0, v17
	s_wait_dscnt 0x0
	v_lshrrev_b32_e32 v22, 16, v12
	s_wait_alu 0xf1ff
	s_delay_alu instid0(VALU_DEP_2) | instskip(SKIP_1) | instid1(VALU_DEP_3)
	v_cndmask_b32_e64 v17, 0, 1, s0
	v_cmp_gt_i32_e64 s0, 1, v20
	v_mul_f16_e32 v23, v45, v22
	s_wait_alu 0xf1ff
	s_delay_alu instid0(VALU_DEP_2)
	v_cndmask_b32_e64 v15, v16, v15, s0
	v_cmp_gt_i32_e64 s0, 31, v19
	v_lshl_or_b32 v16, v17, 9, 0x7c00
	v_and_b32_e32 v17, 0xffff, v21
	v_fmac_f16_e32 v23, v44, v12
	v_and_b32_e32 v21, 7, v15
	s_wait_alu 0xf1ff
	v_cndmask_b32_e64 v7, 0x7c00, v7, s0
	v_cmp_eq_u32_e64 s0, 0x40f, v19
	v_lshl_or_b32 v19, v6, 16, v17
	v_cmp_eq_u32_e64 s1, 3, v21
	s_wait_alu 0xf1ff
	s_delay_alu instid0(VALU_DEP_3) | instskip(SKIP_3) | instid1(VALU_DEP_4)
	v_cndmask_b32_e64 v7, v7, v16, s0
	v_cmp_lt_i32_e64 s0, 5, v21
	v_and_or_b32 v4, 0x1ff, v5, v4
	v_bfe_u32 v24, v5, 20, 11
	v_and_or_b32 v21, 0x8000, v14, v7
	v_lshrrev_b32_e32 v14, 2, v15
	s_or_b32 s0, s1, s0
	v_mul_f64_e32 v[6:7], s[8:9], v[10:11]
	v_cvt_f32_f16_e32 v10, v23
	v_lshrrev_b32_e32 v23, 8, v5
	s_wait_alu 0xfffe
	v_add_co_ci_u32_e64 v14, s0, 0, v14, s0
	v_cmp_ne_u32_e64 s0, 0, v8
	v_cvt_f64_f32_e32 v[10:11], v10
	v_and_b32_e32 v21, 0xffff, v21
	s_wait_alu 0xf1ff
	s_delay_alu instid0(VALU_DEP_3) | instskip(SKIP_1) | instid1(VALU_DEP_2)
	v_cndmask_b32_e64 v8, 0, 1, s0
	v_cmp_gt_i32_e64 s0, 31, v20
	v_lshl_or_b32 v8, v8, 9, 0x7c00
	s_wait_alu 0xf1ff
	s_delay_alu instid0(VALU_DEP_2) | instskip(SKIP_3) | instid1(VALU_DEP_2)
	v_cndmask_b32_e64 v16, 0x7c00, v14, s0
	v_cmp_ne_u32_e64 s0, 0, v4
	v_mad_co_u64_u32 v[14:15], null, s4, v43, 0
	s_wait_alu 0xf1ff
	v_cndmask_b32_e64 v17, 0, 1, s0
	v_cmp_eq_u32_e64 s0, 0x40f, v20
	s_delay_alu instid0(VALU_DEP_3) | instskip(NEXT) | instid1(VALU_DEP_3)
	v_mov_b32_e32 v4, v15
	v_and_or_b32 v23, 0xffe, v23, v17
	v_sub_nc_u32_e32 v15, 0x3f1, v24
	s_wait_alu 0xf1ff
	v_cndmask_b32_e64 v20, v16, v8, s0
	v_add_co_u32 v16, s0, v2, s6
	v_mad_co_u64_u32 v[8:9], null, s5, v43, v[4:5]
	v_or_b32_e32 v4, 0x1000, v23
	v_med3_i32 v9, v15, 0, 13
	s_wait_alu 0xf1ff
	v_add_co_ci_u32_e64 v17, s0, s7, v3, s0
	v_and_or_b32 v6, 0x1ff, v7, v6
	v_and_or_b32 v20, 0x8000, v25, v20
	v_lshrrev_b32_e32 v26, v9, v4
	v_mov_b32_e32 v15, v8
	global_store_b32 v[16:17], v19, off
	v_lshrrev_b32_e32 v5, 16, v5
	v_lshl_or_b32 v18, v20, 16, v21
	v_lshlrev_b32_e32 v8, v9, v26
	v_lshlrev_b64_e32 v[2:3], 2, v[14:15]
	v_add_nc_u32_e32 v14, 0xfffffc10, v24
	s_delay_alu instid0(VALU_DEP_3)
	v_cmp_ne_u32_e64 s0, v8, v4
	v_mul_f64_e32 v[8:9], s[8:9], v[10:11]
	v_mul_f16_e32 v10, v45, v12
	v_lshrrev_b32_e32 v11, 8, v7
	v_bfe_u32 v12, v7, 20, 11
	s_wait_alu 0xf1ff
	v_cndmask_b32_e64 v4, 0, 1, s0
	v_cmp_ne_u32_e64 s0, 0, v6
	v_fma_f16 v10, v44, v22, -v10
	v_lshl_or_b32 v15, v14, 12, v23
	v_lshrrev_b32_e32 v22, 16, v13
	v_or_b32_e32 v4, v26, v4
	s_wait_alu 0xf1ff
	v_cndmask_b32_e64 v6, 0, 1, s0
	v_cmp_gt_i32_e64 s0, 1, v14
	v_cvt_f32_f16_e32 v10, v10
	v_lshrrev_b32_e32 v7, 16, v7
	s_delay_alu instid0(VALU_DEP_4)
	v_and_or_b32 v6, 0xffe, v11, v6
	v_sub_nc_u32_e32 v11, 0x3f1, v12
	s_wait_alu 0xf1ff
	v_cndmask_b32_e64 v4, v15, v4, s0
	v_add_co_u32 v2, s0, v0, v2
	v_or_b32_e32 v15, 0x1000, v6
	v_med3_i32 v19, v11, 0, 13
	v_cvt_f64_f32_e32 v[10:11], v10
	s_wait_alu 0xf1ff
	v_add_co_ci_u32_e64 v3, s0, v1, v3, s0
	v_and_b32_e32 v21, 7, v4
	v_lshrrev_b32_e32 v20, v19, v15
	v_lshrrev_b32_e32 v4, 2, v4
	global_store_b32 v[2:3], v18, off
	v_add_nc_u32_e32 v12, 0xfffffc10, v12
	v_cmp_lt_i32_e64 s0, 5, v21
	v_lshlrev_b32_e32 v2, v19, v20
	v_cmp_eq_u32_e64 s1, 3, v21
	v_mul_f16_e32 v3, v42, v22
	s_delay_alu instid0(VALU_DEP_3) | instskip(NEXT) | instid1(VALU_DEP_3)
	v_cmp_ne_u32_e64 s2, v2, v15
	s_or_b32 s0, s1, s0
	v_lshl_or_b32 v15, v12, 12, v6
	s_wait_alu 0xfffe
	v_add_co_ci_u32_e64 v4, s0, 0, v4, s0
	v_cndmask_b32_e64 v2, 0, 1, s2
	v_cmp_gt_i32_e64 s0, 31, v14
	v_and_or_b32 v8, 0x1ff, v9, v8
	v_lshrrev_b32_e32 v18, 8, v9
	v_bfe_u32 v19, v9, 20, 11
	v_or_b32_e32 v2, v20, v2
	s_wait_alu 0xf1ff
	v_cndmask_b32_e64 v4, 0x7c00, v4, s0
	v_cmp_gt_i32_e64 s0, 1, v12
	v_fmac_f16_e32 v3, v39, v13
	v_cmp_eq_u32_e64 s2, 0x40f, v14
	v_mul_f16_e32 v13, v42, v13
	v_lshrrev_b32_e32 v9, 16, v9
	s_wait_alu 0xf1ff
	v_cndmask_b32_e64 v15, v15, v2, s0
	v_cmp_ne_u32_e64 s0, 0, v8
	v_cvt_f32_f16_e32 v3, v3
	s_delay_alu instid0(VALU_DEP_3) | instskip(SKIP_1) | instid1(VALU_DEP_3)
	v_and_b32_e32 v21, 7, v15
	s_wait_alu 0xf1ff
	v_cndmask_b32_e64 v8, 0, 1, s0
	v_cmp_ne_u32_e64 s0, 0, v23
	v_mul_f64_e32 v[10:11], s[8:9], v[10:11]
	v_lshrrev_b32_e32 v15, 2, v15
	v_cmp_eq_u32_e64 s1, 3, v21
	v_and_or_b32 v8, 0xffe, v18, v8
	v_sub_nc_u32_e32 v18, 0x3f1, v19
	s_wait_alu 0xf1ff
	v_cndmask_b32_e64 v20, 0, 1, s0
	v_cmp_lt_i32_e64 s0, 5, v21
	v_cvt_f64_f32_e32 v[2:3], v3
	v_or_b32_e32 v23, 0x1000, v8
	v_med3_i32 v18, v18, 0, 13
	v_lshl_or_b32 v20, v20, 9, 0x7c00
	s_or_b32 s0, s1, s0
	s_wait_alu 0xfffe
	v_add_co_ci_u32_e64 v15, s0, 0, v15, s0
	v_lshrrev_b32_e32 v14, v18, v23
	v_cmp_ne_u32_e64 s0, 0, v6
	v_cndmask_b32_e64 v4, v4, v20, s2
	s_delay_alu instid0(VALU_DEP_3) | instskip(SKIP_1) | instid1(VALU_DEP_3)
	v_lshlrev_b32_e32 v18, v18, v14
	s_wait_alu 0xf1ff
	v_cndmask_b32_e64 v6, 0, 1, s0
	v_cmp_gt_i32_e64 s0, 31, v12
	v_and_or_b32 v20, 0x8000, v5, v4
	s_delay_alu instid0(VALU_DEP_3) | instskip(SKIP_1) | instid1(VALU_DEP_3)
	v_lshl_or_b32 v6, v6, 9, 0x7c00
	s_wait_alu 0xf1ff
	v_cndmask_b32_e64 v15, 0x7c00, v15, s0
	v_cmp_ne_u32_e64 s0, v18, v23
	v_add_nc_u32_e32 v18, 0xfffffc10, v19
	s_wait_alu 0xf1ff
	s_delay_alu instid0(VALU_DEP_2) | instskip(SKIP_1) | instid1(VALU_DEP_2)
	v_cndmask_b32_e64 v4, 0, 1, s0
	v_cmp_eq_u32_e64 s0, 0x40f, v12
	v_or_b32_e32 v12, v14, v4
	s_wait_alu 0xf1ff
	s_delay_alu instid0(VALU_DEP_2) | instskip(SKIP_3) | instid1(VALU_DEP_4)
	v_cndmask_b32_e64 v6, v15, v6, s0
	v_mad_co_u64_u32 v[4:5], null, 0x70, s4, v[16:17]
	v_lshl_or_b32 v14, v18, 12, v8
	v_cmp_gt_i32_e64 s0, 1, v18
	v_and_or_b32 v17, 0x8000, v7, v6
	v_fma_f16 v6, v39, v22, -v13
	v_and_or_b32 v7, 0x1ff, v11, v10
	v_mul_f64_e32 v[2:3], s[8:9], v[2:3]
	s_wait_alu 0xf1ff
	v_cndmask_b32_e64 v14, v14, v12, s0
	ds_load_b32 v15, v41 offset:672
	v_cvt_f32_f16_e32 v6, v6
	v_cmp_ne_u32_e64 s0, 0, v7
	v_and_b32_e32 v10, 0xffff, v20
	v_and_b32_e32 v16, 7, v14
	v_lshrrev_b32_e32 v20, 8, v11
	v_cvt_f64_f32_e32 v[6:7], v6
	s_wait_alu 0xf1ff
	v_cndmask_b32_e64 v19, 0, 1, s0
	v_bfe_u32 v21, v11, 20, 11
	v_cmp_lt_i32_e64 s0, 5, v16
	v_cmp_eq_u32_e64 s1, 3, v16
	v_lshrrev_b32_e32 v14, 2, v14
	v_and_or_b32 v19, 0xffe, v20, v19
	v_lshl_or_b32 v17, v17, 16, v10
	s_delay_alu instid0(VALU_DEP_4)
	s_or_b32 s0, s1, s0
	s_wait_alu 0xfffe
	v_add_co_ci_u32_e64 v14, s0, 0, v14, s0
	v_cmp_ne_u32_e64 s0, 0, v8
	s_wait_dscnt 0x0
	v_lshrrev_b32_e32 v22, 16, v15
	v_or_b32_e32 v16, 0x1000, v19
	s_wait_alu 0xf1ff
	v_cndmask_b32_e64 v8, 0, 1, s0
	v_cmp_gt_i32_e64 s0, 31, v18
	s_delay_alu instid0(VALU_DEP_2) | instskip(SKIP_1) | instid1(VALU_DEP_2)
	v_lshl_or_b32 v8, v8, 9, 0x7c00
	s_wait_alu 0xf1ff
	v_cndmask_b32_e64 v23, 0x7c00, v14, s0
	v_and_or_b32 v2, 0x1ff, v3, v2
	v_lshrrev_b32_e32 v24, 8, v3
	v_bfe_u32 v25, v3, 20, 11
	v_lshrrev_b32_e32 v3, 16, v3
	s_delay_alu instid0(VALU_DEP_4)
	v_cmp_ne_u32_e64 s0, 0, v2
	v_mad_co_u64_u32 v[12:13], null, 0x70, s5, v[5:6]
	v_mul_f16_e32 v13, v40, v22
	v_sub_nc_u32_e32 v5, 0x3f1, v21
	s_wait_alu 0xf1ff
	v_cndmask_b32_e64 v2, 0, 1, s0
	v_add_nc_u32_e32 v21, 0xfffffc10, v21
	v_mul_f64_e32 v[6:7], s[8:9], v[6:7]
	v_fmac_f16_e32 v13, v38, v15
	v_med3_i32 v5, v5, 0, 13
	v_mul_f16_e32 v15, v40, v15
	v_and_or_b32 v2, 0xffe, v24, v2
	s_delay_alu instid0(VALU_DEP_4) | instskip(NEXT) | instid1(VALU_DEP_4)
	v_cvt_f32_f16_e32 v13, v13
	v_lshrrev_b32_e32 v20, v5, v16
	s_delay_alu instid0(VALU_DEP_4) | instskip(NEXT) | instid1(VALU_DEP_4)
	v_fma_f16 v15, v38, v22, -v15
	v_or_b32_e32 v22, 0x1000, v2
	s_delay_alu instid0(VALU_DEP_4) | instskip(NEXT) | instid1(VALU_DEP_4)
	v_cvt_f64_f32_e32 v[13:14], v13
	v_lshlrev_b32_e32 v5, v5, v20
	s_delay_alu instid0(VALU_DEP_4) | instskip(NEXT) | instid1(VALU_DEP_2)
	v_cvt_f32_f16_e32 v15, v15
	v_cmp_ne_u32_e64 s0, v5, v16
	v_sub_nc_u32_e32 v16, 0x3f1, v25
	s_wait_alu 0xf1ff
	s_delay_alu instid0(VALU_DEP_2) | instskip(SKIP_1) | instid1(VALU_DEP_3)
	v_cndmask_b32_e64 v5, 0, 1, s0
	v_cmp_gt_i32_e64 s0, 1, v21
	v_med3_i32 v24, v16, 0, 13
	v_cvt_f64_f32_e32 v[15:16], v15
	s_delay_alu instid0(VALU_DEP_4) | instskip(SKIP_2) | instid1(VALU_DEP_1)
	v_or_b32_e32 v5, v20, v5
	v_lshl_or_b32 v20, v21, 12, v19
	s_wait_alu 0xf1ff
	v_cndmask_b32_e64 v20, v20, v5, s0
	v_cmp_eq_u32_e64 s0, 0x40f, v18
	v_lshrrev_b32_e32 v18, v24, v22
	v_mov_b32_e32 v5, v12
	v_and_or_b32 v6, 0x1ff, v7, v6
	s_wait_alu 0xf1ff
	v_cndmask_b32_e64 v8, v23, v8, s0
	v_and_b32_e32 v23, 7, v20
	v_lshrrev_b32_e32 v20, 2, v20
	v_lshlrev_b32_e32 v10, v24, v18
	s_delay_alu instid0(VALU_DEP_4) | instskip(NEXT) | instid1(VALU_DEP_4)
	v_and_or_b32 v12, 0x8000, v9, v8
	v_cmp_lt_i32_e64 s0, 5, v23
	v_cmp_eq_u32_e64 s1, 3, v23
	s_delay_alu instid0(VALU_DEP_4)
	v_cmp_ne_u32_e64 s2, v10, v22
	v_add_nc_u32_e32 v22, 0xfffffc10, v25
	v_mul_f64_e32 v[8:9], s[8:9], v[13:14]
	v_and_b32_e32 v12, 0xffff, v12
	s_or_b32 s0, s1, s0
	v_cndmask_b32_e64 v10, 0, 1, s2
	s_wait_alu 0xfffe
	v_add_co_ci_u32_e64 v13, s0, 0, v20, s0
	v_cmp_ne_u32_e64 s0, 0, v19
	v_lshrrev_b32_e32 v20, 8, v7
	v_or_b32_e32 v10, v18, v10
	v_lshl_or_b32 v18, v22, 12, v2
	s_wait_alu 0xf1ff
	v_cndmask_b32_e64 v14, 0, 1, s0
	v_cmp_gt_i32_e64 s0, 31, v21
	s_delay_alu instid0(VALU_DEP_2) | instskip(SKIP_1) | instid1(VALU_DEP_2)
	v_lshl_or_b32 v14, v14, 9, 0x7c00
	s_wait_alu 0xf1ff
	v_cndmask_b32_e64 v13, 0x7c00, v13, s0
	v_cmp_gt_i32_e64 s0, 1, v22
	s_wait_alu 0xf1ff
	s_delay_alu instid0(VALU_DEP_1) | instskip(SKIP_1) | instid1(VALU_DEP_2)
	v_cndmask_b32_e64 v18, v18, v10, s0
	v_cmp_eq_u32_e64 s0, 0x40f, v21
	v_and_b32_e32 v19, 7, v18
	s_wait_alu 0xf1ff
	s_delay_alu instid0(VALU_DEP_2)
	v_cndmask_b32_e64 v13, v13, v14, s0
	v_lshrrev_b32_e32 v14, 16, v11
	v_cmp_ne_u32_e64 s0, 0, v6
	v_mul_f64_e32 v[10:11], s[8:9], v[15:16]
	v_bfe_u32 v15, v7, 20, 11
	v_cmp_eq_u32_e64 s1, 3, v19
	v_and_or_b32 v13, 0x8000, v14, v13
	s_wait_alu 0xf1ff
	v_cndmask_b32_e64 v6, 0, 1, s0
	v_cmp_lt_i32_e64 s0, 5, v19
	v_sub_nc_u32_e32 v14, 0x3f1, v15
	v_and_or_b32 v8, 0x1ff, v9, v8
	v_lshl_or_b32 v12, v13, 16, v12
	v_lshrrev_b32_e32 v13, 2, v18
	v_and_or_b32 v6, 0xffe, v20, v6
	s_or_b32 s0, s1, s0
	v_med3_i32 v14, v14, 0, 13
	v_lshrrev_b32_e32 v19, 8, v9
	s_wait_alu 0xfffe
	v_add_co_ci_u32_e64 v13, s0, 0, v13, s0
	v_or_b32_e32 v16, 0x1000, v6
	v_cmp_ne_u32_e64 s0, 0, v2
	v_bfe_u32 v20, v9, 20, 11
	v_add_nc_u32_e32 v15, 0xfffffc10, v15
	v_lshrrev_b32_e32 v7, 16, v7
	v_lshrrev_b32_e32 v18, v14, v16
	s_wait_alu 0xf1ff
	v_cndmask_b32_e64 v2, 0, 1, s0
	v_cmp_gt_i32_e64 s0, 31, v22
	v_lshrrev_b32_e32 v9, 16, v9
	v_lshlrev_b32_e32 v14, v14, v18
	s_delay_alu instid0(VALU_DEP_4) | instskip(SKIP_4) | instid1(VALU_DEP_1)
	v_lshl_or_b32 v2, v2, 9, 0x7c00
	s_wait_alu 0xf1ff
	v_cndmask_b32_e64 v13, 0x7c00, v13, s0
	v_cmp_ne_u32_e64 s0, 0, v8
	s_wait_alu 0xf1ff
	v_cndmask_b32_e64 v8, 0, 1, s0
	v_cmp_ne_u32_e64 s0, v14, v16
	v_sub_nc_u32_e32 v16, 0x3f1, v20
	v_and_or_b32 v10, 0x1ff, v11, v10
	s_delay_alu instid0(VALU_DEP_4)
	v_and_or_b32 v8, 0xffe, v19, v8
	s_wait_alu 0xf1ff
	v_cndmask_b32_e64 v14, 0, 1, s0
	v_cmp_eq_u32_e64 s0, 0x40f, v22
	v_med3_i32 v16, v16, 0, 13
	v_lshrrev_b32_e32 v19, 8, v11
	v_bfe_u32 v21, v11, 20, 11
	s_wait_alu 0xf1ff
	v_cndmask_b32_e64 v2, v13, v2, s0
	v_or_b32_e32 v13, v18, v14
	v_lshl_or_b32 v14, v15, 12, v6
	v_or_b32_e32 v18, 0x1000, v8
	v_cmp_gt_i32_e64 s0, 1, v15
	v_and_or_b32 v2, 0x8000, v3, v2
	s_wait_alu 0xf1ff
	s_delay_alu instid0(VALU_DEP_2) | instskip(SKIP_2) | instid1(VALU_DEP_3)
	v_cndmask_b32_e64 v13, v14, v13, s0
	v_lshrrev_b32_e32 v14, v16, v18
	v_cmp_ne_u32_e64 s0, 0, v10
	v_and_b32_e32 v22, 7, v13
	s_delay_alu instid0(VALU_DEP_3) | instskip(SKIP_1) | instid1(VALU_DEP_3)
	v_lshlrev_b32_e32 v16, v16, v14
	s_wait_alu 0xf1ff
	v_cndmask_b32_e64 v10, 0, 1, s0
	v_lshrrev_b32_e32 v13, 2, v13
	v_cmp_lt_i32_e64 s0, 5, v22
	v_cmp_ne_u32_e64 s1, v16, v18
	s_delay_alu instid0(VALU_DEP_4)
	v_and_or_b32 v3, 0xffe, v19, v10
	v_sub_nc_u32_e32 v10, 0x3f1, v21
	v_add_nc_u32_e32 v19, 0xfffffc10, v20
	s_wait_alu 0xf1ff
	v_cndmask_b32_e64 v16, 0, 1, s1
	v_cmp_eq_u32_e64 s1, 3, v22
	v_or_b32_e32 v18, 0x1000, v3
	v_med3_i32 v10, v10, 0, 13
	v_lshl_or_b32 v20, v19, 12, v8
	v_or_b32_e32 v14, v14, v16
	s_or_b32 s0, s1, s0
	s_wait_alu 0xfffe
	v_add_co_ci_u32_e64 v13, s0, 0, v13, s0
	v_lshrrev_b32_e32 v16, v10, v18
	v_cmp_gt_i32_e64 s0, 1, v19
	s_delay_alu instid0(VALU_DEP_2) | instskip(SKIP_1) | instid1(VALU_DEP_2)
	v_lshlrev_b32_e32 v10, v10, v16
	s_wait_alu 0xf1ff
	v_cndmask_b32_e64 v14, v20, v14, s0
	v_cmp_ne_u32_e64 s0, 0, v6
	s_delay_alu instid0(VALU_DEP_2) | instskip(SKIP_1) | instid1(VALU_DEP_2)
	v_and_b32_e32 v20, 7, v14
	s_wait_alu 0xf1ff
	v_cndmask_b32_e64 v6, 0, 1, s0
	v_cmp_ne_u32_e64 s0, v10, v18
	v_add_nc_u32_e32 v18, 0xfffffc10, v21
	v_cmp_eq_u32_e64 s1, 3, v20
	s_delay_alu instid0(VALU_DEP_4) | instskip(SKIP_4) | instid1(VALU_DEP_3)
	v_lshl_or_b32 v6, v6, 9, 0x7c00
	s_wait_alu 0xf1ff
	v_cndmask_b32_e64 v10, 0, 1, s0
	v_cmp_gt_i32_e64 s0, 31, v15
	v_cmp_gt_i32_e64 s2, 1, v18
	v_or_b32_e32 v10, v16, v10
	v_lshl_or_b32 v16, v18, 12, v3
	s_wait_alu 0xf1ff
	v_cndmask_b32_e64 v13, 0x7c00, v13, s0
	v_cmp_lt_i32_e64 s0, 5, v20
	s_delay_alu instid0(VALU_DEP_3) | instskip(SKIP_1) | instid1(VALU_DEP_3)
	v_cndmask_b32_e64 v10, v16, v10, s2
	v_cmp_eq_u32_e64 s2, 0x40f, v15
	s_or_b32 s0, s1, s0
	s_delay_alu instid0(VALU_DEP_1)
	v_cndmask_b32_e64 v6, v13, v6, s2
	v_lshrrev_b32_e32 v13, 2, v14
	v_and_b32_e32 v14, 7, v10
	v_lshrrev_b32_e32 v10, 2, v10
	v_cmp_gt_i32_e64 s2, 31, v19
	v_and_or_b32 v6, 0x8000, v7, v6
	s_wait_alu 0xfffe
	v_add_co_ci_u32_e64 v13, s0, 0, v13, s0
	v_cmp_ne_u32_e64 s0, 0, v8
	v_cmp_eq_u32_e64 s1, 3, v14
	v_and_b32_e32 v7, 0xffff, v2
	s_wait_alu 0xf1ff
	v_cndmask_b32_e64 v13, 0x7c00, v13, s2
	v_cndmask_b32_e64 v8, 0, 1, s0
	v_cmp_lt_i32_e64 s0, 5, v14
	s_delay_alu instid0(VALU_DEP_2) | instskip(NEXT) | instid1(VALU_DEP_2)
	v_lshl_or_b32 v8, v8, 9, 0x7c00
	s_or_b32 s0, s1, s0
	s_wait_alu 0xfffe
	v_add_co_ci_u32_e64 v10, s0, 0, v10, s0
	v_cmp_ne_u32_e64 s0, 0, v3
	s_wait_alu 0xf1ff
	s_delay_alu instid0(VALU_DEP_1) | instskip(SKIP_1) | instid1(VALU_DEP_2)
	v_cndmask_b32_e64 v3, 0, 1, s0
	v_cmp_eq_u32_e64 s0, 0x40f, v19
	v_lshl_or_b32 v3, v3, 9, 0x7c00
	s_wait_alu 0xf1ff
	s_delay_alu instid0(VALU_DEP_2) | instskip(SKIP_1) | instid1(VALU_DEP_2)
	v_cndmask_b32_e64 v8, v13, v8, s0
	v_cmp_gt_i32_e64 s0, 31, v18
	v_and_or_b32 v8, 0x8000, v9, v8
	s_wait_alu 0xf1ff
	s_delay_alu instid0(VALU_DEP_2) | instskip(SKIP_1) | instid1(VALU_DEP_3)
	v_cndmask_b32_e64 v10, 0x7c00, v10, s0
	v_cmp_eq_u32_e64 s0, 0x40f, v18
	v_and_b32_e32 v8, 0xffff, v8
	s_wait_alu 0xf1ff
	s_delay_alu instid0(VALU_DEP_2)
	v_cndmask_b32_e64 v9, v10, v3, s0
	v_lshrrev_b32_e32 v10, 16, v11
	v_add_co_u32 v2, s0, v4, s6
	s_wait_alu 0xf1ff
	v_add_co_ci_u32_e64 v3, s0, s7, v5, s0
	v_lshl_or_b32 v11, v6, 16, v7
	v_and_or_b32 v9, 0x8000, v10, v9
	v_add_co_u32 v6, s0, v2, s6
	s_wait_alu 0xf1ff
	v_add_co_ci_u32_e64 v7, s0, s7, v3, s0
	s_delay_alu instid0(VALU_DEP_3) | instskip(NEXT) | instid1(VALU_DEP_3)
	v_lshl_or_b32 v10, v9, 16, v8
	v_add_co_u32 v8, s0, v6, s6
	s_wait_alu 0xf1ff
	s_delay_alu instid0(VALU_DEP_3)
	v_add_co_ci_u32_e64 v9, s0, s7, v7, s0
	global_store_b32 v[4:5], v17, off
	global_store_b32 v[2:3], v12, off
	;; [unrolled: 1-line block ×4, first 2 shown]
	s_and_b32 exec_lo, exec_lo, vcc_lo
	s_cbranch_execz .LBB0_15
; %bb.14:
	v_mov_b32_e32 v2, 0
	ds_load_2addr_b32 v[3:4], v37 offset0:13 offset1:27
	global_load_b32 v5, v2, s[12:13] offset:52
	s_wait_dscnt 0x0
	v_lshrrev_b32_e32 v6, 16, v3
	s_wait_loadcnt 0x0
	v_lshrrev_b32_e32 v7, 16, v5
	s_delay_alu instid0(VALU_DEP_1) | instskip(SKIP_1) | instid1(VALU_DEP_2)
	v_mul_f16_e32 v8, v6, v7
	v_mul_f16_e32 v7, v3, v7
	v_fmac_f16_e32 v8, v3, v5
	s_delay_alu instid0(VALU_DEP_2) | instskip(NEXT) | instid1(VALU_DEP_2)
	v_fma_f16 v3, v5, v6, -v7
	v_cvt_f32_f16_e32 v5, v8
	s_delay_alu instid0(VALU_DEP_2) | instskip(NEXT) | instid1(VALU_DEP_2)
	v_cvt_f32_f16_e32 v3, v3
	v_cvt_f64_f32_e32 v[5:6], v5
	s_delay_alu instid0(VALU_DEP_2) | instskip(NEXT) | instid1(VALU_DEP_2)
	v_cvt_f64_f32_e32 v[7:8], v3
	v_mul_f64_e32 v[5:6], s[8:9], v[5:6]
	s_delay_alu instid0(VALU_DEP_2) | instskip(NEXT) | instid1(VALU_DEP_2)
	v_mul_f64_e32 v[7:8], s[8:9], v[7:8]
	v_and_or_b32 v3, 0x1ff, v6, v5
	s_delay_alu instid0(VALU_DEP_2)
	v_and_or_b32 v7, 0x1ff, v8, v7
	v_lshrrev_b32_e32 v5, 8, v6
	v_bfe_u32 v9, v6, 20, 11
	v_lshrrev_b32_e32 v10, 8, v8
	v_cmp_ne_u32_e32 vcc_lo, 0, v3
	v_bfe_u32 v11, v8, 20, 11
	v_lshrrev_b32_e32 v6, 16, v6
	v_sub_nc_u32_e32 v12, 0x3f1, v9
	v_add_nc_u32_e32 v16, 0xfffffc10, v9
	s_wait_alu 0xfffd
	v_cndmask_b32_e64 v3, 0, 1, vcc_lo
	v_cmp_ne_u32_e32 vcc_lo, 0, v7
	v_lshrrev_b32_e32 v8, 16, v8
	s_delay_alu instid0(VALU_DEP_3) | instskip(SKIP_3) | instid1(VALU_DEP_2)
	v_and_or_b32 v3, 0xffe, v5, v3
	s_wait_alu 0xfffd
	v_cndmask_b32_e64 v7, 0, 1, vcc_lo
	v_sub_nc_u32_e32 v5, 0x3f1, v11
	v_and_or_b32 v7, 0xffe, v10, v7
	v_med3_i32 v10, v12, 0, 13
	v_or_b32_e32 v12, 0x1000, v3
	s_delay_alu instid0(VALU_DEP_4) | instskip(NEXT) | instid1(VALU_DEP_4)
	v_med3_i32 v5, v5, 0, 13
	v_or_b32_e32 v13, 0x1000, v7
	s_delay_alu instid0(VALU_DEP_3) | instskip(NEXT) | instid1(VALU_DEP_2)
	v_lshrrev_b32_e32 v14, v10, v12
	v_lshrrev_b32_e32 v15, v5, v13
	s_delay_alu instid0(VALU_DEP_2) | instskip(NEXT) | instid1(VALU_DEP_2)
	v_lshlrev_b32_e32 v10, v10, v14
	v_lshlrev_b32_e32 v5, v5, v15
	s_delay_alu instid0(VALU_DEP_2)
	v_cmp_ne_u32_e32 vcc_lo, v10, v12
	v_mad_co_u64_u32 v[9:10], null, s4, 52, v[0:1]
	s_wait_alu 0xfffd
	v_cndmask_b32_e64 v12, 0, 1, vcc_lo
	v_cmp_ne_u32_e32 vcc_lo, v5, v13
	v_lshl_or_b32 v13, v16, 12, v3
	s_delay_alu instid0(VALU_DEP_3) | instskip(SKIP_4) | instid1(VALU_DEP_3)
	v_or_b32_e32 v12, v14, v12
	s_wait_alu 0xfffd
	v_cndmask_b32_e64 v5, 0, 1, vcc_lo
	v_cmp_gt_i32_e32 vcc_lo, 1, v16
	v_add_nc_u32_e32 v11, 0xfffffc10, v11
	v_or_b32_e32 v5, v15, v5
	s_wait_alu 0xfffd
	v_cndmask_b32_e32 v12, v13, v12, vcc_lo
	s_delay_alu instid0(VALU_DEP_3) | instskip(SKIP_1) | instid1(VALU_DEP_3)
	v_lshl_or_b32 v14, v11, 12, v7
	v_cmp_gt_i32_e32 vcc_lo, 1, v11
	v_and_b32_e32 v13, 7, v12
	v_lshrrev_b32_e32 v12, 2, v12
	s_wait_alu 0xfffd
	v_cndmask_b32_e32 v5, v14, v5, vcc_lo
	v_cmp_ne_u32_e32 vcc_lo, 0, v3
	v_cmp_eq_u32_e64 s0, 3, v13
	s_wait_alu 0xfffd
	v_cndmask_b32_e64 v3, 0, 1, vcc_lo
	v_cmp_ne_u32_e32 vcc_lo, 0, v7
	s_delay_alu instid0(VALU_DEP_2) | instskip(SKIP_3) | instid1(VALU_DEP_2)
	v_lshl_or_b32 v3, v3, 9, 0x7c00
	s_wait_alu 0xfffd
	v_cndmask_b32_e64 v7, 0, 1, vcc_lo
	v_cmp_lt_i32_e32 vcc_lo, 5, v13
	v_lshl_or_b32 v7, v7, 9, 0x7c00
	v_and_b32_e32 v14, 7, v5
	v_lshrrev_b32_e32 v5, 2, v5
	s_or_b32 vcc_lo, s0, vcc_lo
	s_wait_alu 0xfffe
	v_add_co_ci_u32_e32 v12, vcc_lo, 0, v12, vcc_lo
	v_cmp_lt_i32_e64 s1, 5, v14
	v_cmp_eq_u32_e64 s2, 3, v14
	s_delay_alu instid0(VALU_DEP_1)
	s_or_b32 vcc_lo, s2, s1
	s_wait_alu 0xfffe
	v_add_co_ci_u32_e32 v5, vcc_lo, 0, v5, vcc_lo
	v_cmp_gt_i32_e32 vcc_lo, 31, v16
	s_wait_alu 0xfffd
	v_cndmask_b32_e32 v12, 0x7c00, v12, vcc_lo
	v_cmp_gt_i32_e32 vcc_lo, 31, v11
	s_wait_alu 0xfffd
	v_cndmask_b32_e32 v5, 0x7c00, v5, vcc_lo
	v_cmp_eq_u32_e32 vcc_lo, 0x40f, v16
	s_wait_alu 0xfffd
	v_cndmask_b32_e32 v12, v12, v3, vcc_lo
	v_cmp_eq_u32_e32 vcc_lo, 0x40f, v11
	v_mov_b32_e32 v3, v10
	s_delay_alu instid0(VALU_DEP_3) | instskip(SKIP_2) | instid1(VALU_DEP_3)
	v_and_or_b32 v10, 0x8000, v6, v12
	s_wait_alu 0xfffd
	v_cndmask_b32_e32 v7, v5, v7, vcc_lo
	v_mad_co_u64_u32 v[5:6], null, s5, 52, v[3:4]
	s_delay_alu instid0(VALU_DEP_3) | instskip(NEXT) | instid1(VALU_DEP_3)
	v_and_b32_e32 v6, 0xffff, v10
	v_and_or_b32 v3, 0x8000, v8, v7
	s_delay_alu instid0(VALU_DEP_3) | instskip(NEXT) | instid1(VALU_DEP_2)
	v_mov_b32_e32 v10, v5
	v_lshl_or_b32 v3, v3, 16, v6
	v_lshrrev_b32_e32 v5, 16, v4
	global_store_b32 v[9:10], v3, off
	global_load_b32 v3, v2, s[12:13] offset:108
	s_wait_loadcnt 0x0
	v_lshrrev_b32_e32 v6, 16, v3
	s_delay_alu instid0(VALU_DEP_1) | instskip(SKIP_1) | instid1(VALU_DEP_2)
	v_mul_f16_e32 v7, v5, v6
	v_mul_f16_e32 v6, v4, v6
	v_fmac_f16_e32 v7, v4, v3
	s_delay_alu instid0(VALU_DEP_2) | instskip(NEXT) | instid1(VALU_DEP_2)
	v_fma_f16 v3, v3, v5, -v6
	v_cvt_f32_f16_e32 v4, v7
	s_delay_alu instid0(VALU_DEP_2) | instskip(NEXT) | instid1(VALU_DEP_2)
	v_cvt_f32_f16_e32 v5, v3
	v_cvt_f64_f32_e32 v[3:4], v4
	s_delay_alu instid0(VALU_DEP_2) | instskip(NEXT) | instid1(VALU_DEP_2)
	v_cvt_f64_f32_e32 v[5:6], v5
	v_mul_f64_e32 v[3:4], s[8:9], v[3:4]
	s_delay_alu instid0(VALU_DEP_2) | instskip(NEXT) | instid1(VALU_DEP_2)
	v_mul_f64_e32 v[5:6], s[8:9], v[5:6]
	v_and_or_b32 v3, 0x1ff, v4, v3
	s_delay_alu instid0(VALU_DEP_2)
	v_and_or_b32 v5, 0x1ff, v6, v5
	v_lshrrev_b32_e32 v7, 8, v4
	v_bfe_u32 v8, v4, 20, 11
	v_lshrrev_b32_e32 v9, 8, v6
	v_cmp_ne_u32_e32 vcc_lo, 0, v3
	v_bfe_u32 v10, v6, 20, 11
	v_lshrrev_b32_e32 v4, 16, v4
	v_sub_nc_u32_e32 v11, 0x3f1, v8
	v_add_nc_u32_e32 v15, 0xfffffc10, v8
	s_wait_alu 0xfffd
	v_cndmask_b32_e64 v3, 0, 1, vcc_lo
	v_cmp_ne_u32_e32 vcc_lo, 0, v5
	v_lshrrev_b32_e32 v6, 16, v6
	s_delay_alu instid0(VALU_DEP_3) | instskip(SKIP_3) | instid1(VALU_DEP_2)
	v_and_or_b32 v3, 0xffe, v7, v3
	s_wait_alu 0xfffd
	v_cndmask_b32_e64 v5, 0, 1, vcc_lo
	v_sub_nc_u32_e32 v7, 0x3f1, v10
	v_and_or_b32 v5, 0xffe, v9, v5
	v_med3_i32 v9, v11, 0, 13
	v_or_b32_e32 v11, 0x1000, v3
	s_delay_alu instid0(VALU_DEP_4) | instskip(NEXT) | instid1(VALU_DEP_4)
	v_med3_i32 v7, v7, 0, 13
	v_or_b32_e32 v12, 0x1000, v5
	s_delay_alu instid0(VALU_DEP_3) | instskip(NEXT) | instid1(VALU_DEP_2)
	v_lshrrev_b32_e32 v13, v9, v11
	v_lshrrev_b32_e32 v14, v7, v12
	s_delay_alu instid0(VALU_DEP_2) | instskip(NEXT) | instid1(VALU_DEP_2)
	v_lshlrev_b32_e32 v9, v9, v13
	v_lshlrev_b32_e32 v7, v7, v14
	s_delay_alu instid0(VALU_DEP_2) | instskip(SKIP_2) | instid1(VALU_DEP_3)
	v_cmp_ne_u32_e32 vcc_lo, v9, v11
	s_wait_alu 0xfffd
	v_cndmask_b32_e64 v9, 0, 1, vcc_lo
	v_cmp_ne_u32_e32 vcc_lo, v7, v12
	v_lshl_or_b32 v12, v15, 12, v3
	v_mad_co_u64_u32 v[7:8], null, 0x6c, s4, v[0:1]
	s_delay_alu instid0(VALU_DEP_4) | instskip(SKIP_3) | instid1(VALU_DEP_2)
	v_or_b32_e32 v9, v13, v9
	s_wait_alu 0xfffd
	v_cndmask_b32_e64 v11, 0, 1, vcc_lo
	v_cmp_gt_i32_e32 vcc_lo, 1, v15
	v_or_b32_e32 v11, v14, v11
	s_wait_alu 0xfffd
	v_dual_cndmask_b32 v9, v12, v9 :: v_dual_add_nc_u32 v10, 0xfffffc10, v10
	s_delay_alu instid0(VALU_DEP_1) | instskip(SKIP_1) | instid1(VALU_DEP_3)
	v_lshl_or_b32 v13, v10, 12, v5
	v_cmp_gt_i32_e32 vcc_lo, 1, v10
	v_and_b32_e32 v12, 7, v9
	v_lshrrev_b32_e32 v9, 2, v9
	s_wait_alu 0xfffd
	v_cndmask_b32_e32 v11, v13, v11, vcc_lo
	v_cmp_ne_u32_e32 vcc_lo, 0, v3
	v_cmp_eq_u32_e64 s0, 3, v12
	s_delay_alu instid0(VALU_DEP_3)
	v_and_b32_e32 v13, 7, v11
	s_wait_alu 0xfffd
	v_cndmask_b32_e64 v3, 0, 1, vcc_lo
	v_cmp_ne_u32_e32 vcc_lo, 0, v5
	v_lshrrev_b32_e32 v11, 2, v11
	v_cmp_lt_i32_e64 s1, 5, v13
	v_cmp_eq_u32_e64 s2, 3, v13
	s_wait_alu 0xfffd
	v_cndmask_b32_e64 v5, 0, 1, vcc_lo
	v_cmp_lt_i32_e32 vcc_lo, 5, v12
	v_lshl_or_b32 v3, v3, 9, 0x7c00
	s_delay_alu instid0(VALU_DEP_3)
	v_lshl_or_b32 v5, v5, 9, 0x7c00
	s_or_b32 vcc_lo, s0, vcc_lo
	s_wait_alu 0xfffe
	v_add_co_ci_u32_e32 v9, vcc_lo, 0, v9, vcc_lo
	s_or_b32 vcc_lo, s2, s1
	s_wait_alu 0xfffe
	v_add_co_ci_u32_e32 v11, vcc_lo, 0, v11, vcc_lo
	v_cmp_gt_i32_e32 vcc_lo, 31, v15
	s_wait_alu 0xfffd
	v_cndmask_b32_e32 v9, 0x7c00, v9, vcc_lo
	v_cmp_gt_i32_e32 vcc_lo, 31, v10
	s_wait_alu 0xfffd
	v_cndmask_b32_e32 v11, 0x7c00, v11, vcc_lo
	v_cmp_eq_u32_e32 vcc_lo, 0x40f, v15
	s_wait_alu 0xfffd
	v_cndmask_b32_e32 v9, v9, v3, vcc_lo
	v_cmp_eq_u32_e32 vcc_lo, 0x40f, v10
	v_mov_b32_e32 v3, v8
	s_delay_alu instid0(VALU_DEP_3) | instskip(SKIP_2) | instid1(VALU_DEP_3)
	v_and_or_b32 v8, 0x8000, v4, v9
	s_wait_alu 0xfffd
	v_cndmask_b32_e32 v5, v11, v5, vcc_lo
	v_mad_co_u64_u32 v[3:4], null, 0x6c, s5, v[3:4]
	s_delay_alu instid0(VALU_DEP_2) | instskip(NEXT) | instid1(VALU_DEP_2)
	v_and_or_b32 v4, 0x8000, v6, v5
	v_dual_mov_b32 v8, v3 :: v_dual_and_b32 v5, 0xffff, v8
	s_delay_alu instid0(VALU_DEP_1)
	v_lshl_or_b32 v3, v4, 16, v5
	global_store_b32 v[7:8], v3, off
	global_load_b32 v5, v2, s[12:13] offset:164
	ds_load_2addr_b32 v[3:4], v37 offset0:41 offset1:55
	s_wait_dscnt 0x0
	v_lshrrev_b32_e32 v6, 16, v3
	s_wait_loadcnt 0x0
	v_lshrrev_b32_e32 v7, 16, v5
	s_delay_alu instid0(VALU_DEP_1) | instskip(SKIP_1) | instid1(VALU_DEP_2)
	v_mul_f16_e32 v8, v6, v7
	v_mul_f16_e32 v7, v3, v7
	v_fmac_f16_e32 v8, v3, v5
	s_delay_alu instid0(VALU_DEP_2) | instskip(NEXT) | instid1(VALU_DEP_2)
	v_fma_f16 v3, v5, v6, -v7
	v_cvt_f32_f16_e32 v5, v8
	s_delay_alu instid0(VALU_DEP_2) | instskip(NEXT) | instid1(VALU_DEP_2)
	v_cvt_f32_f16_e32 v3, v3
	v_cvt_f64_f32_e32 v[5:6], v5
	s_delay_alu instid0(VALU_DEP_2) | instskip(NEXT) | instid1(VALU_DEP_2)
	v_cvt_f64_f32_e32 v[7:8], v3
	v_mul_f64_e32 v[5:6], s[8:9], v[5:6]
	s_delay_alu instid0(VALU_DEP_2) | instskip(NEXT) | instid1(VALU_DEP_2)
	v_mul_f64_e32 v[7:8], s[8:9], v[7:8]
	v_and_or_b32 v3, 0x1ff, v6, v5
	s_delay_alu instid0(VALU_DEP_2)
	v_and_or_b32 v7, 0x1ff, v8, v7
	v_lshrrev_b32_e32 v5, 8, v6
	v_bfe_u32 v9, v6, 20, 11
	v_lshrrev_b32_e32 v10, 8, v8
	v_cmp_ne_u32_e32 vcc_lo, 0, v3
	v_bfe_u32 v11, v8, 20, 11
	v_lshrrev_b32_e32 v6, 16, v6
	v_sub_nc_u32_e32 v12, 0x3f1, v9
	v_add_nc_u32_e32 v16, 0xfffffc10, v9
	s_wait_alu 0xfffd
	v_cndmask_b32_e64 v3, 0, 1, vcc_lo
	v_cmp_ne_u32_e32 vcc_lo, 0, v7
	v_lshrrev_b32_e32 v8, 16, v8
	s_delay_alu instid0(VALU_DEP_3) | instskip(SKIP_4) | instid1(VALU_DEP_3)
	v_and_or_b32 v3, 0xffe, v5, v3
	s_wait_alu 0xfffd
	v_cndmask_b32_e64 v7, 0, 1, vcc_lo
	v_sub_nc_u32_e32 v5, 0x3f1, v11
	v_add_nc_u32_e32 v11, 0xfffffc10, v11
	v_and_or_b32 v7, 0xffe, v10, v7
	v_med3_i32 v10, v12, 0, 13
	v_or_b32_e32 v12, 0x1000, v3
	v_med3_i32 v5, v5, 0, 13
	s_delay_alu instid0(VALU_DEP_4) | instskip(NEXT) | instid1(VALU_DEP_3)
	v_or_b32_e32 v13, 0x1000, v7
	v_lshrrev_b32_e32 v14, v10, v12
	s_delay_alu instid0(VALU_DEP_2) | instskip(NEXT) | instid1(VALU_DEP_2)
	v_lshrrev_b32_e32 v15, v5, v13
	v_lshlrev_b32_e32 v10, v10, v14
	s_delay_alu instid0(VALU_DEP_2) | instskip(NEXT) | instid1(VALU_DEP_2)
	v_lshlrev_b32_e32 v5, v5, v15
	v_cmp_ne_u32_e32 vcc_lo, v10, v12
	v_mad_co_u64_u32 v[9:10], null, 0xa4, s4, v[0:1]
	s_wait_alu 0xfffd
	v_cndmask_b32_e64 v12, 0, 1, vcc_lo
	v_cmp_ne_u32_e32 vcc_lo, v5, v13
	v_lshl_or_b32 v13, v16, 12, v3
	s_delay_alu instid0(VALU_DEP_3) | instskip(SKIP_4) | instid1(VALU_DEP_3)
	v_or_b32_e32 v12, v14, v12
	s_wait_alu 0xfffd
	v_cndmask_b32_e64 v5, 0, 1, vcc_lo
	v_cmp_gt_i32_e32 vcc_lo, 1, v16
	v_lshl_or_b32 v14, v11, 12, v7
	v_or_b32_e32 v5, v15, v5
	s_wait_alu 0xfffd
	v_cndmask_b32_e32 v12, v13, v12, vcc_lo
	v_cmp_gt_i32_e32 vcc_lo, 1, v11
	s_delay_alu instid0(VALU_DEP_2)
	v_and_b32_e32 v13, 7, v12
	s_wait_alu 0xfffd
	v_cndmask_b32_e32 v5, v14, v5, vcc_lo
	v_cmp_ne_u32_e32 vcc_lo, 0, v3
	v_lshrrev_b32_e32 v12, 2, v12
	v_cmp_eq_u32_e64 s0, 3, v13
	s_delay_alu instid0(VALU_DEP_4)
	v_and_b32_e32 v14, 7, v5
	s_wait_alu 0xfffd
	v_cndmask_b32_e64 v3, 0, 1, vcc_lo
	v_cmp_ne_u32_e32 vcc_lo, 0, v7
	v_lshrrev_b32_e32 v5, 2, v5
	v_cmp_lt_i32_e64 s1, 5, v14
	v_cmp_eq_u32_e64 s2, 3, v14
	s_wait_alu 0xfffd
	v_cndmask_b32_e64 v7, 0, 1, vcc_lo
	v_cmp_lt_i32_e32 vcc_lo, 5, v13
	v_lshl_or_b32 v3, v3, 9, 0x7c00
	s_delay_alu instid0(VALU_DEP_3)
	v_lshl_or_b32 v7, v7, 9, 0x7c00
	s_or_b32 vcc_lo, s0, vcc_lo
	s_wait_alu 0xfffe
	v_add_co_ci_u32_e32 v12, vcc_lo, 0, v12, vcc_lo
	s_or_b32 vcc_lo, s2, s1
	s_wait_alu 0xfffe
	v_add_co_ci_u32_e32 v5, vcc_lo, 0, v5, vcc_lo
	v_cmp_gt_i32_e32 vcc_lo, 31, v16
	s_wait_alu 0xfffd
	v_cndmask_b32_e32 v12, 0x7c00, v12, vcc_lo
	v_cmp_gt_i32_e32 vcc_lo, 31, v11
	s_wait_alu 0xfffd
	v_cndmask_b32_e32 v5, 0x7c00, v5, vcc_lo
	v_cmp_eq_u32_e32 vcc_lo, 0x40f, v16
	s_wait_alu 0xfffd
	v_cndmask_b32_e32 v12, v12, v3, vcc_lo
	v_cmp_eq_u32_e32 vcc_lo, 0x40f, v11
	v_mov_b32_e32 v3, v10
	s_delay_alu instid0(VALU_DEP_3) | instskip(SKIP_2) | instid1(VALU_DEP_3)
	v_and_or_b32 v10, 0x8000, v6, v12
	s_wait_alu 0xfffd
	v_cndmask_b32_e32 v7, v5, v7, vcc_lo
	v_mad_co_u64_u32 v[5:6], null, 0xa4, s5, v[3:4]
	s_delay_alu instid0(VALU_DEP_3) | instskip(NEXT) | instid1(VALU_DEP_3)
	v_and_b32_e32 v6, 0xffff, v10
	v_and_or_b32 v3, 0x8000, v8, v7
	s_delay_alu instid0(VALU_DEP_3) | instskip(NEXT) | instid1(VALU_DEP_2)
	v_mov_b32_e32 v10, v5
	v_lshl_or_b32 v3, v3, 16, v6
	v_lshrrev_b32_e32 v5, 16, v4
	global_store_b32 v[9:10], v3, off
	global_load_b32 v3, v2, s[12:13] offset:220
	s_wait_loadcnt 0x0
	v_lshrrev_b32_e32 v6, 16, v3
	s_delay_alu instid0(VALU_DEP_1) | instskip(SKIP_1) | instid1(VALU_DEP_2)
	v_mul_f16_e32 v7, v5, v6
	v_mul_f16_e32 v6, v4, v6
	v_fmac_f16_e32 v7, v4, v3
	s_delay_alu instid0(VALU_DEP_2) | instskip(NEXT) | instid1(VALU_DEP_2)
	v_fma_f16 v3, v3, v5, -v6
	v_cvt_f32_f16_e32 v4, v7
	s_delay_alu instid0(VALU_DEP_2) | instskip(NEXT) | instid1(VALU_DEP_2)
	v_cvt_f32_f16_e32 v5, v3
	v_cvt_f64_f32_e32 v[3:4], v4
	s_delay_alu instid0(VALU_DEP_2) | instskip(NEXT) | instid1(VALU_DEP_2)
	v_cvt_f64_f32_e32 v[5:6], v5
	v_mul_f64_e32 v[3:4], s[8:9], v[3:4]
	s_delay_alu instid0(VALU_DEP_2) | instskip(NEXT) | instid1(VALU_DEP_2)
	v_mul_f64_e32 v[5:6], s[8:9], v[5:6]
	v_and_or_b32 v3, 0x1ff, v4, v3
	s_delay_alu instid0(VALU_DEP_2)
	v_and_or_b32 v5, 0x1ff, v6, v5
	v_lshrrev_b32_e32 v7, 8, v4
	v_bfe_u32 v8, v4, 20, 11
	v_lshrrev_b32_e32 v9, 8, v6
	v_cmp_ne_u32_e32 vcc_lo, 0, v3
	v_bfe_u32 v10, v6, 20, 11
	v_lshrrev_b32_e32 v4, 16, v4
	v_sub_nc_u32_e32 v11, 0x3f1, v8
	v_add_nc_u32_e32 v15, 0xfffffc10, v8
	s_wait_alu 0xfffd
	v_cndmask_b32_e64 v3, 0, 1, vcc_lo
	v_cmp_ne_u32_e32 vcc_lo, 0, v5
	v_lshrrev_b32_e32 v6, 16, v6
	s_delay_alu instid0(VALU_DEP_3) | instskip(SKIP_4) | instid1(VALU_DEP_3)
	v_and_or_b32 v3, 0xffe, v7, v3
	s_wait_alu 0xfffd
	v_cndmask_b32_e64 v5, 0, 1, vcc_lo
	v_sub_nc_u32_e32 v7, 0x3f1, v10
	v_add_nc_u32_e32 v10, 0xfffffc10, v10
	v_and_or_b32 v5, 0xffe, v9, v5
	v_med3_i32 v9, v11, 0, 13
	v_or_b32_e32 v11, 0x1000, v3
	v_med3_i32 v7, v7, 0, 13
	s_delay_alu instid0(VALU_DEP_4) | instskip(NEXT) | instid1(VALU_DEP_3)
	v_or_b32_e32 v12, 0x1000, v5
	v_lshrrev_b32_e32 v13, v9, v11
	s_delay_alu instid0(VALU_DEP_2) | instskip(NEXT) | instid1(VALU_DEP_2)
	v_lshrrev_b32_e32 v14, v7, v12
	v_lshlrev_b32_e32 v9, v9, v13
	s_delay_alu instid0(VALU_DEP_2) | instskip(NEXT) | instid1(VALU_DEP_2)
	v_lshlrev_b32_e32 v7, v7, v14
	v_cmp_ne_u32_e32 vcc_lo, v9, v11
	s_wait_alu 0xfffd
	v_cndmask_b32_e64 v9, 0, 1, vcc_lo
	s_delay_alu instid0(VALU_DEP_3) | instskip(SKIP_2) | instid1(VALU_DEP_4)
	v_cmp_ne_u32_e32 vcc_lo, v7, v12
	v_lshl_or_b32 v12, v15, 12, v3
	v_mad_co_u64_u32 v[7:8], null, 0xdc, s4, v[0:1]
	v_or_b32_e32 v9, v13, v9
	s_wait_alu 0xfffd
	v_cndmask_b32_e64 v11, 0, 1, vcc_lo
	v_cmp_gt_i32_e32 vcc_lo, 1, v15
	v_lshl_or_b32 v13, v10, 12, v5
	s_delay_alu instid0(VALU_DEP_3) | instskip(SKIP_4) | instid1(VALU_DEP_2)
	v_or_b32_e32 v11, v14, v11
	s_wait_alu 0xfffd
	v_cndmask_b32_e32 v9, v12, v9, vcc_lo
	v_cmp_gt_i32_e32 vcc_lo, 1, v10
	s_wait_alu 0xfffd
	v_dual_cndmask_b32 v11, v13, v11 :: v_dual_and_b32 v12, 7, v9
	v_cmp_ne_u32_e32 vcc_lo, 0, v3
	v_lshrrev_b32_e32 v9, 2, v9
	s_delay_alu instid0(VALU_DEP_3) | instskip(NEXT) | instid1(VALU_DEP_4)
	v_cmp_eq_u32_e64 s0, 3, v12
	v_and_b32_e32 v13, 7, v11
	s_wait_alu 0xfffd
	v_cndmask_b32_e64 v3, 0, 1, vcc_lo
	v_cmp_ne_u32_e32 vcc_lo, 0, v5
	v_lshrrev_b32_e32 v11, 2, v11
	v_cmp_lt_i32_e64 s1, 5, v13
	v_cmp_eq_u32_e64 s2, 3, v13
	s_wait_alu 0xfffd
	v_cndmask_b32_e64 v5, 0, 1, vcc_lo
	v_cmp_lt_i32_e32 vcc_lo, 5, v12
	v_lshl_or_b32 v3, v3, 9, 0x7c00
	s_delay_alu instid0(VALU_DEP_3)
	v_lshl_or_b32 v5, v5, 9, 0x7c00
	s_or_b32 vcc_lo, s0, vcc_lo
	s_wait_alu 0xfffe
	v_add_co_ci_u32_e32 v9, vcc_lo, 0, v9, vcc_lo
	s_or_b32 vcc_lo, s2, s1
	s_wait_alu 0xfffe
	v_add_co_ci_u32_e32 v11, vcc_lo, 0, v11, vcc_lo
	v_cmp_gt_i32_e32 vcc_lo, 31, v15
	s_wait_alu 0xfffd
	v_cndmask_b32_e32 v9, 0x7c00, v9, vcc_lo
	v_cmp_gt_i32_e32 vcc_lo, 31, v10
	s_wait_alu 0xfffd
	v_cndmask_b32_e32 v11, 0x7c00, v11, vcc_lo
	v_cmp_eq_u32_e32 vcc_lo, 0x40f, v15
	s_wait_alu 0xfffd
	v_cndmask_b32_e32 v9, v9, v3, vcc_lo
	v_cmp_eq_u32_e32 vcc_lo, 0x40f, v10
	v_mov_b32_e32 v3, v8
	s_delay_alu instid0(VALU_DEP_3) | instskip(SKIP_2) | instid1(VALU_DEP_3)
	v_and_or_b32 v8, 0x8000, v4, v9
	s_wait_alu 0xfffd
	v_cndmask_b32_e32 v5, v11, v5, vcc_lo
	v_mad_co_u64_u32 v[3:4], null, 0xdc, s5, v[3:4]
	s_delay_alu instid0(VALU_DEP_2) | instskip(NEXT) | instid1(VALU_DEP_2)
	v_and_or_b32 v4, 0x8000, v6, v5
	v_dual_mov_b32 v8, v3 :: v_dual_and_b32 v5, 0xffff, v8
	s_delay_alu instid0(VALU_DEP_1)
	v_lshl_or_b32 v3, v4, 16, v5
	global_store_b32 v[7:8], v3, off
	global_load_b32 v5, v2, s[12:13] offset:276
	ds_load_2addr_b32 v[3:4], v37 offset0:69 offset1:83
	s_wait_dscnt 0x0
	v_lshrrev_b32_e32 v6, 16, v3
	s_wait_loadcnt 0x0
	v_lshrrev_b32_e32 v7, 16, v5
	s_delay_alu instid0(VALU_DEP_1) | instskip(SKIP_1) | instid1(VALU_DEP_2)
	v_mul_f16_e32 v8, v6, v7
	v_mul_f16_e32 v7, v3, v7
	v_fmac_f16_e32 v8, v3, v5
	s_delay_alu instid0(VALU_DEP_2) | instskip(NEXT) | instid1(VALU_DEP_2)
	v_fma_f16 v3, v5, v6, -v7
	v_cvt_f32_f16_e32 v5, v8
	s_delay_alu instid0(VALU_DEP_2) | instskip(NEXT) | instid1(VALU_DEP_2)
	v_cvt_f32_f16_e32 v3, v3
	v_cvt_f64_f32_e32 v[5:6], v5
	s_delay_alu instid0(VALU_DEP_2) | instskip(NEXT) | instid1(VALU_DEP_2)
	v_cvt_f64_f32_e32 v[7:8], v3
	v_mul_f64_e32 v[5:6], s[8:9], v[5:6]
	s_delay_alu instid0(VALU_DEP_2) | instskip(NEXT) | instid1(VALU_DEP_2)
	v_mul_f64_e32 v[7:8], s[8:9], v[7:8]
	v_and_or_b32 v3, 0x1ff, v6, v5
	s_delay_alu instid0(VALU_DEP_2)
	v_and_or_b32 v7, 0x1ff, v8, v7
	v_lshrrev_b32_e32 v5, 8, v6
	v_bfe_u32 v9, v6, 20, 11
	v_lshrrev_b32_e32 v10, 8, v8
	v_cmp_ne_u32_e32 vcc_lo, 0, v3
	v_bfe_u32 v11, v8, 20, 11
	v_lshrrev_b32_e32 v6, 16, v6
	v_sub_nc_u32_e32 v12, 0x3f1, v9
	v_add_nc_u32_e32 v16, 0xfffffc10, v9
	s_wait_alu 0xfffd
	v_cndmask_b32_e64 v3, 0, 1, vcc_lo
	v_cmp_ne_u32_e32 vcc_lo, 0, v7
	v_lshrrev_b32_e32 v8, 16, v8
	s_delay_alu instid0(VALU_DEP_3) | instskip(SKIP_4) | instid1(VALU_DEP_3)
	v_and_or_b32 v3, 0xffe, v5, v3
	s_wait_alu 0xfffd
	v_cndmask_b32_e64 v7, 0, 1, vcc_lo
	v_sub_nc_u32_e32 v5, 0x3f1, v11
	v_add_nc_u32_e32 v11, 0xfffffc10, v11
	v_and_or_b32 v7, 0xffe, v10, v7
	v_med3_i32 v10, v12, 0, 13
	v_or_b32_e32 v12, 0x1000, v3
	v_med3_i32 v5, v5, 0, 13
	s_delay_alu instid0(VALU_DEP_4) | instskip(NEXT) | instid1(VALU_DEP_3)
	v_or_b32_e32 v13, 0x1000, v7
	v_lshrrev_b32_e32 v14, v10, v12
	s_delay_alu instid0(VALU_DEP_2) | instskip(NEXT) | instid1(VALU_DEP_2)
	v_lshrrev_b32_e32 v15, v5, v13
	v_lshlrev_b32_e32 v10, v10, v14
	s_delay_alu instid0(VALU_DEP_2) | instskip(NEXT) | instid1(VALU_DEP_2)
	v_lshlrev_b32_e32 v5, v5, v15
	v_cmp_ne_u32_e32 vcc_lo, v10, v12
	v_mad_co_u64_u32 v[9:10], null, 0x114, s4, v[0:1]
	s_wait_alu 0xfffd
	v_cndmask_b32_e64 v12, 0, 1, vcc_lo
	v_cmp_ne_u32_e32 vcc_lo, v5, v13
	v_lshl_or_b32 v13, v16, 12, v3
	s_delay_alu instid0(VALU_DEP_3) | instskip(SKIP_4) | instid1(VALU_DEP_3)
	v_or_b32_e32 v12, v14, v12
	s_wait_alu 0xfffd
	v_cndmask_b32_e64 v5, 0, 1, vcc_lo
	v_cmp_gt_i32_e32 vcc_lo, 1, v16
	v_lshl_or_b32 v14, v11, 12, v7
	v_or_b32_e32 v5, v15, v5
	s_wait_alu 0xfffd
	v_cndmask_b32_e32 v12, v13, v12, vcc_lo
	v_cmp_gt_i32_e32 vcc_lo, 1, v11
	s_delay_alu instid0(VALU_DEP_2)
	v_and_b32_e32 v13, 7, v12
	s_wait_alu 0xfffd
	v_cndmask_b32_e32 v5, v14, v5, vcc_lo
	v_cmp_ne_u32_e32 vcc_lo, 0, v3
	v_lshrrev_b32_e32 v12, 2, v12
	v_cmp_eq_u32_e64 s0, 3, v13
	s_delay_alu instid0(VALU_DEP_4)
	v_and_b32_e32 v14, 7, v5
	s_wait_alu 0xfffd
	v_cndmask_b32_e64 v3, 0, 1, vcc_lo
	v_cmp_ne_u32_e32 vcc_lo, 0, v7
	v_lshrrev_b32_e32 v5, 2, v5
	v_cmp_lt_i32_e64 s1, 5, v14
	v_cmp_eq_u32_e64 s2, 3, v14
	s_wait_alu 0xfffd
	v_cndmask_b32_e64 v7, 0, 1, vcc_lo
	v_cmp_lt_i32_e32 vcc_lo, 5, v13
	v_lshl_or_b32 v3, v3, 9, 0x7c00
	s_delay_alu instid0(VALU_DEP_3)
	v_lshl_or_b32 v7, v7, 9, 0x7c00
	s_or_b32 vcc_lo, s0, vcc_lo
	s_wait_alu 0xfffe
	v_add_co_ci_u32_e32 v12, vcc_lo, 0, v12, vcc_lo
	s_or_b32 vcc_lo, s2, s1
	s_wait_alu 0xfffe
	v_add_co_ci_u32_e32 v5, vcc_lo, 0, v5, vcc_lo
	v_cmp_gt_i32_e32 vcc_lo, 31, v16
	s_wait_alu 0xfffd
	v_cndmask_b32_e32 v12, 0x7c00, v12, vcc_lo
	v_cmp_gt_i32_e32 vcc_lo, 31, v11
	s_wait_alu 0xfffd
	v_cndmask_b32_e32 v5, 0x7c00, v5, vcc_lo
	v_cmp_eq_u32_e32 vcc_lo, 0x40f, v16
	s_wait_alu 0xfffd
	v_cndmask_b32_e32 v12, v12, v3, vcc_lo
	v_cmp_eq_u32_e32 vcc_lo, 0x40f, v11
	v_mov_b32_e32 v3, v10
	s_delay_alu instid0(VALU_DEP_3) | instskip(SKIP_2) | instid1(VALU_DEP_3)
	v_and_or_b32 v10, 0x8000, v6, v12
	s_wait_alu 0xfffd
	v_cndmask_b32_e32 v7, v5, v7, vcc_lo
	v_mad_co_u64_u32 v[5:6], null, 0x114, s5, v[3:4]
	s_delay_alu instid0(VALU_DEP_3) | instskip(NEXT) | instid1(VALU_DEP_3)
	v_and_b32_e32 v6, 0xffff, v10
	v_and_or_b32 v3, 0x8000, v8, v7
	s_delay_alu instid0(VALU_DEP_3) | instskip(NEXT) | instid1(VALU_DEP_2)
	v_mov_b32_e32 v10, v5
	v_lshl_or_b32 v3, v3, 16, v6
	v_lshrrev_b32_e32 v5, 16, v4
	global_store_b32 v[9:10], v3, off
	global_load_b32 v3, v2, s[12:13] offset:332
	s_wait_loadcnt 0x0
	v_lshrrev_b32_e32 v6, 16, v3
	s_delay_alu instid0(VALU_DEP_1) | instskip(SKIP_1) | instid1(VALU_DEP_2)
	v_mul_f16_e32 v7, v5, v6
	v_mul_f16_e32 v6, v4, v6
	v_fmac_f16_e32 v7, v4, v3
	s_delay_alu instid0(VALU_DEP_2) | instskip(NEXT) | instid1(VALU_DEP_2)
	v_fma_f16 v3, v3, v5, -v6
	v_cvt_f32_f16_e32 v4, v7
	s_delay_alu instid0(VALU_DEP_2) | instskip(NEXT) | instid1(VALU_DEP_2)
	v_cvt_f32_f16_e32 v5, v3
	v_cvt_f64_f32_e32 v[3:4], v4
	s_delay_alu instid0(VALU_DEP_2) | instskip(NEXT) | instid1(VALU_DEP_2)
	v_cvt_f64_f32_e32 v[5:6], v5
	v_mul_f64_e32 v[3:4], s[8:9], v[3:4]
	s_delay_alu instid0(VALU_DEP_2) | instskip(NEXT) | instid1(VALU_DEP_2)
	v_mul_f64_e32 v[5:6], s[8:9], v[5:6]
	v_and_or_b32 v3, 0x1ff, v4, v3
	s_delay_alu instid0(VALU_DEP_2)
	v_and_or_b32 v5, 0x1ff, v6, v5
	v_lshrrev_b32_e32 v7, 8, v4
	v_bfe_u32 v8, v4, 20, 11
	v_lshrrev_b32_e32 v9, 8, v6
	v_cmp_ne_u32_e32 vcc_lo, 0, v3
	v_bfe_u32 v10, v6, 20, 11
	v_lshrrev_b32_e32 v4, 16, v4
	v_sub_nc_u32_e32 v11, 0x3f1, v8
	v_add_nc_u32_e32 v15, 0xfffffc10, v8
	s_wait_alu 0xfffd
	v_cndmask_b32_e64 v3, 0, 1, vcc_lo
	v_cmp_ne_u32_e32 vcc_lo, 0, v5
	v_lshrrev_b32_e32 v6, 16, v6
	s_delay_alu instid0(VALU_DEP_3) | instskip(SKIP_4) | instid1(VALU_DEP_3)
	v_and_or_b32 v3, 0xffe, v7, v3
	s_wait_alu 0xfffd
	v_cndmask_b32_e64 v5, 0, 1, vcc_lo
	v_sub_nc_u32_e32 v7, 0x3f1, v10
	v_add_nc_u32_e32 v10, 0xfffffc10, v10
	v_and_or_b32 v5, 0xffe, v9, v5
	v_med3_i32 v9, v11, 0, 13
	v_or_b32_e32 v11, 0x1000, v3
	v_med3_i32 v7, v7, 0, 13
	s_delay_alu instid0(VALU_DEP_4) | instskip(NEXT) | instid1(VALU_DEP_3)
	v_or_b32_e32 v12, 0x1000, v5
	v_lshrrev_b32_e32 v13, v9, v11
	s_delay_alu instid0(VALU_DEP_2) | instskip(NEXT) | instid1(VALU_DEP_2)
	v_lshrrev_b32_e32 v14, v7, v12
	v_lshlrev_b32_e32 v9, v9, v13
	s_delay_alu instid0(VALU_DEP_2) | instskip(NEXT) | instid1(VALU_DEP_2)
	v_lshlrev_b32_e32 v7, v7, v14
	v_cmp_ne_u32_e32 vcc_lo, v9, v11
	s_wait_alu 0xfffd
	v_cndmask_b32_e64 v9, 0, 1, vcc_lo
	s_delay_alu instid0(VALU_DEP_3) | instskip(SKIP_2) | instid1(VALU_DEP_4)
	v_cmp_ne_u32_e32 vcc_lo, v7, v12
	v_lshl_or_b32 v12, v15, 12, v3
	v_mad_co_u64_u32 v[7:8], null, 0x14c, s4, v[0:1]
	v_or_b32_e32 v9, v13, v9
	s_wait_alu 0xfffd
	v_cndmask_b32_e64 v11, 0, 1, vcc_lo
	v_cmp_gt_i32_e32 vcc_lo, 1, v15
	v_lshl_or_b32 v13, v10, 12, v5
	s_delay_alu instid0(VALU_DEP_3) | instskip(SKIP_4) | instid1(VALU_DEP_2)
	v_or_b32_e32 v11, v14, v11
	s_wait_alu 0xfffd
	v_cndmask_b32_e32 v9, v12, v9, vcc_lo
	v_cmp_gt_i32_e32 vcc_lo, 1, v10
	s_wait_alu 0xfffd
	v_dual_cndmask_b32 v11, v13, v11 :: v_dual_and_b32 v12, 7, v9
	v_cmp_ne_u32_e32 vcc_lo, 0, v3
	v_lshrrev_b32_e32 v9, 2, v9
	s_delay_alu instid0(VALU_DEP_3) | instskip(NEXT) | instid1(VALU_DEP_4)
	v_cmp_eq_u32_e64 s0, 3, v12
	v_and_b32_e32 v13, 7, v11
	s_wait_alu 0xfffd
	v_cndmask_b32_e64 v3, 0, 1, vcc_lo
	v_cmp_ne_u32_e32 vcc_lo, 0, v5
	v_lshrrev_b32_e32 v11, 2, v11
	v_cmp_lt_i32_e64 s1, 5, v13
	v_cmp_eq_u32_e64 s2, 3, v13
	s_wait_alu 0xfffd
	v_cndmask_b32_e64 v5, 0, 1, vcc_lo
	v_cmp_lt_i32_e32 vcc_lo, 5, v12
	v_lshl_or_b32 v3, v3, 9, 0x7c00
	s_delay_alu instid0(VALU_DEP_3)
	v_lshl_or_b32 v5, v5, 9, 0x7c00
	s_or_b32 vcc_lo, s0, vcc_lo
	s_wait_alu 0xfffe
	v_add_co_ci_u32_e32 v9, vcc_lo, 0, v9, vcc_lo
	s_or_b32 vcc_lo, s2, s1
	s_wait_alu 0xfffe
	v_add_co_ci_u32_e32 v11, vcc_lo, 0, v11, vcc_lo
	v_cmp_gt_i32_e32 vcc_lo, 31, v15
	s_wait_alu 0xfffd
	v_cndmask_b32_e32 v9, 0x7c00, v9, vcc_lo
	v_cmp_gt_i32_e32 vcc_lo, 31, v10
	s_wait_alu 0xfffd
	v_cndmask_b32_e32 v11, 0x7c00, v11, vcc_lo
	v_cmp_eq_u32_e32 vcc_lo, 0x40f, v15
	s_wait_alu 0xfffd
	v_cndmask_b32_e32 v9, v9, v3, vcc_lo
	v_cmp_eq_u32_e32 vcc_lo, 0x40f, v10
	v_mov_b32_e32 v3, v8
	s_delay_alu instid0(VALU_DEP_3) | instskip(SKIP_2) | instid1(VALU_DEP_3)
	v_and_or_b32 v8, 0x8000, v4, v9
	s_wait_alu 0xfffd
	v_cndmask_b32_e32 v5, v11, v5, vcc_lo
	v_mad_co_u64_u32 v[3:4], null, 0x14c, s5, v[3:4]
	s_delay_alu instid0(VALU_DEP_2) | instskip(NEXT) | instid1(VALU_DEP_2)
	v_and_or_b32 v4, 0x8000, v6, v5
	v_dual_mov_b32 v8, v3 :: v_dual_and_b32 v5, 0xffff, v8
	s_delay_alu instid0(VALU_DEP_1)
	v_lshl_or_b32 v3, v4, 16, v5
	global_store_b32 v[7:8], v3, off
	global_load_b32 v5, v2, s[12:13] offset:388
	ds_load_2addr_b32 v[3:4], v37 offset0:97 offset1:111
	s_wait_dscnt 0x0
	v_lshrrev_b32_e32 v6, 16, v3
	s_wait_loadcnt 0x0
	v_lshrrev_b32_e32 v7, 16, v5
	s_delay_alu instid0(VALU_DEP_1) | instskip(SKIP_1) | instid1(VALU_DEP_2)
	v_mul_f16_e32 v8, v6, v7
	v_mul_f16_e32 v7, v3, v7
	v_fmac_f16_e32 v8, v3, v5
	s_delay_alu instid0(VALU_DEP_2) | instskip(NEXT) | instid1(VALU_DEP_2)
	v_fma_f16 v3, v5, v6, -v7
	v_cvt_f32_f16_e32 v5, v8
	s_delay_alu instid0(VALU_DEP_2) | instskip(NEXT) | instid1(VALU_DEP_2)
	v_cvt_f32_f16_e32 v3, v3
	v_cvt_f64_f32_e32 v[5:6], v5
	s_delay_alu instid0(VALU_DEP_2) | instskip(NEXT) | instid1(VALU_DEP_2)
	v_cvt_f64_f32_e32 v[7:8], v3
	v_mul_f64_e32 v[5:6], s[8:9], v[5:6]
	s_delay_alu instid0(VALU_DEP_2) | instskip(NEXT) | instid1(VALU_DEP_2)
	v_mul_f64_e32 v[7:8], s[8:9], v[7:8]
	v_and_or_b32 v3, 0x1ff, v6, v5
	s_delay_alu instid0(VALU_DEP_2)
	v_and_or_b32 v7, 0x1ff, v8, v7
	v_lshrrev_b32_e32 v5, 8, v6
	v_bfe_u32 v9, v6, 20, 11
	v_lshrrev_b32_e32 v10, 8, v8
	v_cmp_ne_u32_e32 vcc_lo, 0, v3
	v_bfe_u32 v11, v8, 20, 11
	v_lshrrev_b32_e32 v6, 16, v6
	v_sub_nc_u32_e32 v12, 0x3f1, v9
	v_add_nc_u32_e32 v16, 0xfffffc10, v9
	s_wait_alu 0xfffd
	v_cndmask_b32_e64 v3, 0, 1, vcc_lo
	v_cmp_ne_u32_e32 vcc_lo, 0, v7
	v_lshrrev_b32_e32 v8, 16, v8
	s_delay_alu instid0(VALU_DEP_3) | instskip(SKIP_4) | instid1(VALU_DEP_3)
	v_and_or_b32 v3, 0xffe, v5, v3
	s_wait_alu 0xfffd
	v_cndmask_b32_e64 v7, 0, 1, vcc_lo
	v_sub_nc_u32_e32 v5, 0x3f1, v11
	v_add_nc_u32_e32 v11, 0xfffffc10, v11
	v_and_or_b32 v7, 0xffe, v10, v7
	v_med3_i32 v10, v12, 0, 13
	v_or_b32_e32 v12, 0x1000, v3
	v_med3_i32 v5, v5, 0, 13
	s_delay_alu instid0(VALU_DEP_4) | instskip(NEXT) | instid1(VALU_DEP_3)
	v_or_b32_e32 v13, 0x1000, v7
	v_lshrrev_b32_e32 v14, v10, v12
	s_delay_alu instid0(VALU_DEP_2) | instskip(NEXT) | instid1(VALU_DEP_2)
	v_lshrrev_b32_e32 v15, v5, v13
	v_lshlrev_b32_e32 v10, v10, v14
	s_delay_alu instid0(VALU_DEP_2) | instskip(NEXT) | instid1(VALU_DEP_2)
	v_lshlrev_b32_e32 v5, v5, v15
	v_cmp_ne_u32_e32 vcc_lo, v10, v12
	v_mad_co_u64_u32 v[9:10], null, 0x184, s4, v[0:1]
	s_wait_alu 0xfffd
	v_cndmask_b32_e64 v12, 0, 1, vcc_lo
	v_cmp_ne_u32_e32 vcc_lo, v5, v13
	v_lshl_or_b32 v13, v16, 12, v3
	s_delay_alu instid0(VALU_DEP_3) | instskip(SKIP_4) | instid1(VALU_DEP_3)
	v_or_b32_e32 v12, v14, v12
	s_wait_alu 0xfffd
	v_cndmask_b32_e64 v5, 0, 1, vcc_lo
	v_cmp_gt_i32_e32 vcc_lo, 1, v16
	v_lshl_or_b32 v14, v11, 12, v7
	v_or_b32_e32 v5, v15, v5
	s_wait_alu 0xfffd
	v_cndmask_b32_e32 v12, v13, v12, vcc_lo
	v_cmp_gt_i32_e32 vcc_lo, 1, v11
	s_delay_alu instid0(VALU_DEP_2)
	v_and_b32_e32 v13, 7, v12
	s_wait_alu 0xfffd
	v_cndmask_b32_e32 v5, v14, v5, vcc_lo
	v_cmp_ne_u32_e32 vcc_lo, 0, v3
	v_lshrrev_b32_e32 v12, 2, v12
	v_cmp_eq_u32_e64 s0, 3, v13
	s_delay_alu instid0(VALU_DEP_4)
	v_and_b32_e32 v14, 7, v5
	s_wait_alu 0xfffd
	v_cndmask_b32_e64 v3, 0, 1, vcc_lo
	v_cmp_ne_u32_e32 vcc_lo, 0, v7
	v_lshrrev_b32_e32 v5, 2, v5
	v_cmp_lt_i32_e64 s1, 5, v14
	v_cmp_eq_u32_e64 s2, 3, v14
	s_wait_alu 0xfffd
	v_cndmask_b32_e64 v7, 0, 1, vcc_lo
	v_cmp_lt_i32_e32 vcc_lo, 5, v13
	v_lshl_or_b32 v3, v3, 9, 0x7c00
	s_delay_alu instid0(VALU_DEP_3)
	v_lshl_or_b32 v7, v7, 9, 0x7c00
	s_or_b32 vcc_lo, s0, vcc_lo
	s_wait_alu 0xfffe
	v_add_co_ci_u32_e32 v12, vcc_lo, 0, v12, vcc_lo
	s_or_b32 vcc_lo, s2, s1
	s_wait_alu 0xfffe
	v_add_co_ci_u32_e32 v5, vcc_lo, 0, v5, vcc_lo
	v_cmp_gt_i32_e32 vcc_lo, 31, v16
	s_wait_alu 0xfffd
	v_cndmask_b32_e32 v12, 0x7c00, v12, vcc_lo
	v_cmp_gt_i32_e32 vcc_lo, 31, v11
	s_wait_alu 0xfffd
	v_cndmask_b32_e32 v5, 0x7c00, v5, vcc_lo
	v_cmp_eq_u32_e32 vcc_lo, 0x40f, v16
	s_wait_alu 0xfffd
	v_cndmask_b32_e32 v12, v12, v3, vcc_lo
	v_cmp_eq_u32_e32 vcc_lo, 0x40f, v11
	v_mov_b32_e32 v3, v10
	s_delay_alu instid0(VALU_DEP_3) | instskip(SKIP_2) | instid1(VALU_DEP_3)
	v_and_or_b32 v10, 0x8000, v6, v12
	s_wait_alu 0xfffd
	v_cndmask_b32_e32 v7, v5, v7, vcc_lo
	v_mad_co_u64_u32 v[5:6], null, 0x184, s5, v[3:4]
	s_delay_alu instid0(VALU_DEP_3) | instskip(NEXT) | instid1(VALU_DEP_3)
	v_and_b32_e32 v6, 0xffff, v10
	v_and_or_b32 v3, 0x8000, v8, v7
	s_delay_alu instid0(VALU_DEP_3) | instskip(NEXT) | instid1(VALU_DEP_2)
	v_mov_b32_e32 v10, v5
	v_lshl_or_b32 v3, v3, 16, v6
	v_lshrrev_b32_e32 v5, 16, v4
	global_store_b32 v[9:10], v3, off
	global_load_b32 v3, v2, s[12:13] offset:444
	s_wait_loadcnt 0x0
	v_lshrrev_b32_e32 v6, 16, v3
	s_delay_alu instid0(VALU_DEP_1) | instskip(SKIP_1) | instid1(VALU_DEP_2)
	v_mul_f16_e32 v7, v5, v6
	v_mul_f16_e32 v6, v4, v6
	v_fmac_f16_e32 v7, v4, v3
	s_delay_alu instid0(VALU_DEP_2) | instskip(NEXT) | instid1(VALU_DEP_2)
	v_fma_f16 v3, v3, v5, -v6
	v_cvt_f32_f16_e32 v4, v7
	s_delay_alu instid0(VALU_DEP_2) | instskip(NEXT) | instid1(VALU_DEP_2)
	v_cvt_f32_f16_e32 v5, v3
	v_cvt_f64_f32_e32 v[3:4], v4
	s_delay_alu instid0(VALU_DEP_2) | instskip(NEXT) | instid1(VALU_DEP_2)
	v_cvt_f64_f32_e32 v[5:6], v5
	v_mul_f64_e32 v[3:4], s[8:9], v[3:4]
	s_delay_alu instid0(VALU_DEP_2) | instskip(NEXT) | instid1(VALU_DEP_2)
	v_mul_f64_e32 v[5:6], s[8:9], v[5:6]
	v_and_or_b32 v3, 0x1ff, v4, v3
	s_delay_alu instid0(VALU_DEP_2)
	v_and_or_b32 v5, 0x1ff, v6, v5
	v_lshrrev_b32_e32 v7, 8, v4
	v_bfe_u32 v8, v4, 20, 11
	v_lshrrev_b32_e32 v9, 8, v6
	v_cmp_ne_u32_e32 vcc_lo, 0, v3
	v_bfe_u32 v10, v6, 20, 11
	v_lshrrev_b32_e32 v4, 16, v4
	v_sub_nc_u32_e32 v11, 0x3f1, v8
	v_add_nc_u32_e32 v15, 0xfffffc10, v8
	s_wait_alu 0xfffd
	v_cndmask_b32_e64 v3, 0, 1, vcc_lo
	v_cmp_ne_u32_e32 vcc_lo, 0, v5
	v_lshrrev_b32_e32 v6, 16, v6
	s_delay_alu instid0(VALU_DEP_3) | instskip(SKIP_4) | instid1(VALU_DEP_3)
	v_and_or_b32 v3, 0xffe, v7, v3
	s_wait_alu 0xfffd
	v_cndmask_b32_e64 v5, 0, 1, vcc_lo
	v_sub_nc_u32_e32 v7, 0x3f1, v10
	v_add_nc_u32_e32 v10, 0xfffffc10, v10
	v_and_or_b32 v5, 0xffe, v9, v5
	v_med3_i32 v9, v11, 0, 13
	v_or_b32_e32 v11, 0x1000, v3
	v_med3_i32 v7, v7, 0, 13
	s_delay_alu instid0(VALU_DEP_4) | instskip(NEXT) | instid1(VALU_DEP_3)
	v_or_b32_e32 v12, 0x1000, v5
	v_lshrrev_b32_e32 v13, v9, v11
	s_delay_alu instid0(VALU_DEP_2) | instskip(NEXT) | instid1(VALU_DEP_2)
	v_lshrrev_b32_e32 v14, v7, v12
	v_lshlrev_b32_e32 v9, v9, v13
	s_delay_alu instid0(VALU_DEP_2) | instskip(NEXT) | instid1(VALU_DEP_2)
	v_lshlrev_b32_e32 v7, v7, v14
	v_cmp_ne_u32_e32 vcc_lo, v9, v11
	s_wait_alu 0xfffd
	v_cndmask_b32_e64 v9, 0, 1, vcc_lo
	s_delay_alu instid0(VALU_DEP_3) | instskip(SKIP_2) | instid1(VALU_DEP_4)
	v_cmp_ne_u32_e32 vcc_lo, v7, v12
	v_lshl_or_b32 v12, v15, 12, v3
	v_mad_co_u64_u32 v[7:8], null, 0x1bc, s4, v[0:1]
	v_or_b32_e32 v9, v13, v9
	s_wait_alu 0xfffd
	v_cndmask_b32_e64 v11, 0, 1, vcc_lo
	v_cmp_gt_i32_e32 vcc_lo, 1, v15
	v_lshl_or_b32 v13, v10, 12, v5
	s_delay_alu instid0(VALU_DEP_3) | instskip(SKIP_4) | instid1(VALU_DEP_2)
	v_or_b32_e32 v11, v14, v11
	s_wait_alu 0xfffd
	v_cndmask_b32_e32 v9, v12, v9, vcc_lo
	v_cmp_gt_i32_e32 vcc_lo, 1, v10
	s_wait_alu 0xfffd
	v_dual_cndmask_b32 v11, v13, v11 :: v_dual_and_b32 v12, 7, v9
	v_cmp_ne_u32_e32 vcc_lo, 0, v3
	v_lshrrev_b32_e32 v9, 2, v9
	s_delay_alu instid0(VALU_DEP_3) | instskip(NEXT) | instid1(VALU_DEP_4)
	v_cmp_eq_u32_e64 s0, 3, v12
	v_and_b32_e32 v13, 7, v11
	s_wait_alu 0xfffd
	v_cndmask_b32_e64 v3, 0, 1, vcc_lo
	v_cmp_ne_u32_e32 vcc_lo, 0, v5
	v_lshrrev_b32_e32 v11, 2, v11
	v_cmp_lt_i32_e64 s1, 5, v13
	v_cmp_eq_u32_e64 s2, 3, v13
	s_wait_alu 0xfffd
	v_cndmask_b32_e64 v5, 0, 1, vcc_lo
	v_cmp_lt_i32_e32 vcc_lo, 5, v12
	v_lshl_or_b32 v3, v3, 9, 0x7c00
	s_delay_alu instid0(VALU_DEP_3)
	v_lshl_or_b32 v5, v5, 9, 0x7c00
	s_or_b32 vcc_lo, s0, vcc_lo
	s_wait_alu 0xfffe
	v_add_co_ci_u32_e32 v9, vcc_lo, 0, v9, vcc_lo
	s_or_b32 vcc_lo, s2, s1
	s_wait_alu 0xfffe
	v_add_co_ci_u32_e32 v11, vcc_lo, 0, v11, vcc_lo
	v_cmp_gt_i32_e32 vcc_lo, 31, v15
	s_wait_alu 0xfffd
	v_cndmask_b32_e32 v9, 0x7c00, v9, vcc_lo
	v_cmp_gt_i32_e32 vcc_lo, 31, v10
	s_wait_alu 0xfffd
	v_cndmask_b32_e32 v11, 0x7c00, v11, vcc_lo
	v_cmp_eq_u32_e32 vcc_lo, 0x40f, v15
	s_wait_alu 0xfffd
	v_cndmask_b32_e32 v9, v9, v3, vcc_lo
	v_cmp_eq_u32_e32 vcc_lo, 0x40f, v10
	v_mov_b32_e32 v3, v8
	s_delay_alu instid0(VALU_DEP_3) | instskip(SKIP_2) | instid1(VALU_DEP_3)
	v_and_or_b32 v8, 0x8000, v4, v9
	s_wait_alu 0xfffd
	v_cndmask_b32_e32 v5, v11, v5, vcc_lo
	v_mad_co_u64_u32 v[3:4], null, 0x1bc, s5, v[3:4]
	s_delay_alu instid0(VALU_DEP_2) | instskip(NEXT) | instid1(VALU_DEP_2)
	v_and_or_b32 v4, 0x8000, v6, v5
	v_dual_mov_b32 v8, v3 :: v_dual_and_b32 v5, 0xffff, v8
	s_delay_alu instid0(VALU_DEP_1)
	v_lshl_or_b32 v3, v4, 16, v5
	global_store_b32 v[7:8], v3, off
	global_load_b32 v5, v2, s[12:13] offset:500
	ds_load_2addr_b32 v[3:4], v37 offset0:125 offset1:139
	s_wait_dscnt 0x0
	v_lshrrev_b32_e32 v6, 16, v3
	s_wait_loadcnt 0x0
	v_lshrrev_b32_e32 v7, 16, v5
	s_delay_alu instid0(VALU_DEP_1) | instskip(SKIP_1) | instid1(VALU_DEP_2)
	v_mul_f16_e32 v8, v6, v7
	v_mul_f16_e32 v7, v3, v7
	v_fmac_f16_e32 v8, v3, v5
	s_delay_alu instid0(VALU_DEP_2) | instskip(NEXT) | instid1(VALU_DEP_2)
	v_fma_f16 v3, v5, v6, -v7
	v_cvt_f32_f16_e32 v5, v8
	s_delay_alu instid0(VALU_DEP_2) | instskip(NEXT) | instid1(VALU_DEP_2)
	v_cvt_f32_f16_e32 v3, v3
	v_cvt_f64_f32_e32 v[5:6], v5
	s_delay_alu instid0(VALU_DEP_2) | instskip(NEXT) | instid1(VALU_DEP_2)
	v_cvt_f64_f32_e32 v[7:8], v3
	v_mul_f64_e32 v[5:6], s[8:9], v[5:6]
	s_delay_alu instid0(VALU_DEP_2) | instskip(NEXT) | instid1(VALU_DEP_2)
	v_mul_f64_e32 v[7:8], s[8:9], v[7:8]
	v_and_or_b32 v3, 0x1ff, v6, v5
	s_delay_alu instid0(VALU_DEP_2)
	v_and_or_b32 v7, 0x1ff, v8, v7
	v_lshrrev_b32_e32 v5, 8, v6
	v_bfe_u32 v9, v6, 20, 11
	v_lshrrev_b32_e32 v10, 8, v8
	v_cmp_ne_u32_e32 vcc_lo, 0, v3
	v_bfe_u32 v11, v8, 20, 11
	v_lshrrev_b32_e32 v6, 16, v6
	v_sub_nc_u32_e32 v12, 0x3f1, v9
	v_add_nc_u32_e32 v16, 0xfffffc10, v9
	s_wait_alu 0xfffd
	v_cndmask_b32_e64 v3, 0, 1, vcc_lo
	v_cmp_ne_u32_e32 vcc_lo, 0, v7
	v_lshrrev_b32_e32 v8, 16, v8
	s_delay_alu instid0(VALU_DEP_3) | instskip(SKIP_4) | instid1(VALU_DEP_3)
	v_and_or_b32 v3, 0xffe, v5, v3
	s_wait_alu 0xfffd
	v_cndmask_b32_e64 v7, 0, 1, vcc_lo
	v_sub_nc_u32_e32 v5, 0x3f1, v11
	v_add_nc_u32_e32 v11, 0xfffffc10, v11
	v_and_or_b32 v7, 0xffe, v10, v7
	v_med3_i32 v10, v12, 0, 13
	v_or_b32_e32 v12, 0x1000, v3
	v_med3_i32 v5, v5, 0, 13
	s_delay_alu instid0(VALU_DEP_4) | instskip(NEXT) | instid1(VALU_DEP_3)
	v_or_b32_e32 v13, 0x1000, v7
	v_lshrrev_b32_e32 v14, v10, v12
	s_delay_alu instid0(VALU_DEP_2) | instskip(NEXT) | instid1(VALU_DEP_2)
	v_lshrrev_b32_e32 v15, v5, v13
	v_lshlrev_b32_e32 v10, v10, v14
	s_delay_alu instid0(VALU_DEP_2) | instskip(NEXT) | instid1(VALU_DEP_2)
	v_lshlrev_b32_e32 v5, v5, v15
	v_cmp_ne_u32_e32 vcc_lo, v10, v12
	v_mad_co_u64_u32 v[9:10], null, 0x1f4, s4, v[0:1]
	s_wait_alu 0xfffd
	v_cndmask_b32_e64 v12, 0, 1, vcc_lo
	v_cmp_ne_u32_e32 vcc_lo, v5, v13
	v_lshl_or_b32 v13, v16, 12, v3
	s_delay_alu instid0(VALU_DEP_3) | instskip(SKIP_4) | instid1(VALU_DEP_3)
	v_or_b32_e32 v12, v14, v12
	s_wait_alu 0xfffd
	v_cndmask_b32_e64 v5, 0, 1, vcc_lo
	v_cmp_gt_i32_e32 vcc_lo, 1, v16
	v_lshl_or_b32 v14, v11, 12, v7
	v_or_b32_e32 v5, v15, v5
	s_wait_alu 0xfffd
	v_cndmask_b32_e32 v12, v13, v12, vcc_lo
	v_cmp_gt_i32_e32 vcc_lo, 1, v11
	s_delay_alu instid0(VALU_DEP_2)
	v_and_b32_e32 v13, 7, v12
	s_wait_alu 0xfffd
	v_cndmask_b32_e32 v5, v14, v5, vcc_lo
	v_cmp_ne_u32_e32 vcc_lo, 0, v3
	v_lshrrev_b32_e32 v12, 2, v12
	v_cmp_eq_u32_e64 s0, 3, v13
	s_delay_alu instid0(VALU_DEP_4)
	v_and_b32_e32 v14, 7, v5
	s_wait_alu 0xfffd
	v_cndmask_b32_e64 v3, 0, 1, vcc_lo
	v_cmp_ne_u32_e32 vcc_lo, 0, v7
	v_lshrrev_b32_e32 v5, 2, v5
	v_cmp_lt_i32_e64 s1, 5, v14
	v_cmp_eq_u32_e64 s2, 3, v14
	s_wait_alu 0xfffd
	v_cndmask_b32_e64 v7, 0, 1, vcc_lo
	v_cmp_lt_i32_e32 vcc_lo, 5, v13
	v_lshl_or_b32 v3, v3, 9, 0x7c00
	s_delay_alu instid0(VALU_DEP_3)
	v_lshl_or_b32 v7, v7, 9, 0x7c00
	s_or_b32 vcc_lo, s0, vcc_lo
	s_wait_alu 0xfffe
	v_add_co_ci_u32_e32 v12, vcc_lo, 0, v12, vcc_lo
	s_or_b32 vcc_lo, s2, s1
	s_wait_alu 0xfffe
	v_add_co_ci_u32_e32 v5, vcc_lo, 0, v5, vcc_lo
	v_cmp_gt_i32_e32 vcc_lo, 31, v16
	s_wait_alu 0xfffd
	v_cndmask_b32_e32 v12, 0x7c00, v12, vcc_lo
	v_cmp_gt_i32_e32 vcc_lo, 31, v11
	s_wait_alu 0xfffd
	v_cndmask_b32_e32 v5, 0x7c00, v5, vcc_lo
	v_cmp_eq_u32_e32 vcc_lo, 0x40f, v16
	s_wait_alu 0xfffd
	v_cndmask_b32_e32 v12, v12, v3, vcc_lo
	v_cmp_eq_u32_e32 vcc_lo, 0x40f, v11
	v_mov_b32_e32 v3, v10
	s_delay_alu instid0(VALU_DEP_3) | instskip(SKIP_2) | instid1(VALU_DEP_3)
	v_and_or_b32 v10, 0x8000, v6, v12
	s_wait_alu 0xfffd
	v_cndmask_b32_e32 v7, v5, v7, vcc_lo
	v_mad_co_u64_u32 v[5:6], null, 0x1f4, s5, v[3:4]
	s_delay_alu instid0(VALU_DEP_3) | instskip(NEXT) | instid1(VALU_DEP_3)
	v_and_b32_e32 v6, 0xffff, v10
	v_and_or_b32 v3, 0x8000, v8, v7
	s_delay_alu instid0(VALU_DEP_3) | instskip(NEXT) | instid1(VALU_DEP_2)
	v_mov_b32_e32 v10, v5
	v_lshl_or_b32 v3, v3, 16, v6
	v_lshrrev_b32_e32 v5, 16, v4
	global_store_b32 v[9:10], v3, off
	global_load_b32 v3, v2, s[12:13] offset:556
	s_wait_loadcnt 0x0
	v_lshrrev_b32_e32 v6, 16, v3
	s_delay_alu instid0(VALU_DEP_1) | instskip(SKIP_1) | instid1(VALU_DEP_2)
	v_mul_f16_e32 v7, v5, v6
	v_mul_f16_e32 v6, v4, v6
	v_fmac_f16_e32 v7, v4, v3
	s_delay_alu instid0(VALU_DEP_2) | instskip(NEXT) | instid1(VALU_DEP_2)
	v_fma_f16 v3, v3, v5, -v6
	v_cvt_f32_f16_e32 v4, v7
	s_delay_alu instid0(VALU_DEP_2) | instskip(NEXT) | instid1(VALU_DEP_2)
	v_cvt_f32_f16_e32 v5, v3
	v_cvt_f64_f32_e32 v[3:4], v4
	s_delay_alu instid0(VALU_DEP_2) | instskip(NEXT) | instid1(VALU_DEP_2)
	v_cvt_f64_f32_e32 v[5:6], v5
	v_mul_f64_e32 v[3:4], s[8:9], v[3:4]
	s_delay_alu instid0(VALU_DEP_2) | instskip(NEXT) | instid1(VALU_DEP_2)
	v_mul_f64_e32 v[5:6], s[8:9], v[5:6]
	v_and_or_b32 v3, 0x1ff, v4, v3
	s_delay_alu instid0(VALU_DEP_2)
	v_and_or_b32 v5, 0x1ff, v6, v5
	v_lshrrev_b32_e32 v7, 8, v4
	v_bfe_u32 v8, v4, 20, 11
	v_lshrrev_b32_e32 v9, 8, v6
	v_cmp_ne_u32_e32 vcc_lo, 0, v3
	v_bfe_u32 v10, v6, 20, 11
	v_lshrrev_b32_e32 v4, 16, v4
	v_sub_nc_u32_e32 v11, 0x3f1, v8
	v_add_nc_u32_e32 v15, 0xfffffc10, v8
	s_wait_alu 0xfffd
	v_cndmask_b32_e64 v3, 0, 1, vcc_lo
	v_cmp_ne_u32_e32 vcc_lo, 0, v5
	v_lshrrev_b32_e32 v6, 16, v6
	s_delay_alu instid0(VALU_DEP_3) | instskip(SKIP_4) | instid1(VALU_DEP_3)
	v_and_or_b32 v3, 0xffe, v7, v3
	s_wait_alu 0xfffd
	v_cndmask_b32_e64 v5, 0, 1, vcc_lo
	v_sub_nc_u32_e32 v7, 0x3f1, v10
	v_add_nc_u32_e32 v10, 0xfffffc10, v10
	v_and_or_b32 v5, 0xffe, v9, v5
	v_med3_i32 v9, v11, 0, 13
	v_or_b32_e32 v11, 0x1000, v3
	v_med3_i32 v7, v7, 0, 13
	s_delay_alu instid0(VALU_DEP_4) | instskip(NEXT) | instid1(VALU_DEP_3)
	v_or_b32_e32 v12, 0x1000, v5
	v_lshrrev_b32_e32 v13, v9, v11
	s_delay_alu instid0(VALU_DEP_2) | instskip(NEXT) | instid1(VALU_DEP_2)
	v_lshrrev_b32_e32 v14, v7, v12
	v_lshlrev_b32_e32 v9, v9, v13
	s_delay_alu instid0(VALU_DEP_2) | instskip(NEXT) | instid1(VALU_DEP_2)
	v_lshlrev_b32_e32 v7, v7, v14
	v_cmp_ne_u32_e32 vcc_lo, v9, v11
	s_wait_alu 0xfffd
	v_cndmask_b32_e64 v9, 0, 1, vcc_lo
	s_delay_alu instid0(VALU_DEP_3) | instskip(SKIP_2) | instid1(VALU_DEP_4)
	v_cmp_ne_u32_e32 vcc_lo, v7, v12
	v_lshl_or_b32 v12, v15, 12, v3
	v_mad_co_u64_u32 v[7:8], null, 0x22c, s4, v[0:1]
	v_or_b32_e32 v9, v13, v9
	s_wait_alu 0xfffd
	v_cndmask_b32_e64 v11, 0, 1, vcc_lo
	v_cmp_gt_i32_e32 vcc_lo, 1, v15
	v_lshl_or_b32 v13, v10, 12, v5
	s_delay_alu instid0(VALU_DEP_3) | instskip(SKIP_4) | instid1(VALU_DEP_2)
	v_or_b32_e32 v11, v14, v11
	s_wait_alu 0xfffd
	v_cndmask_b32_e32 v9, v12, v9, vcc_lo
	v_cmp_gt_i32_e32 vcc_lo, 1, v10
	s_wait_alu 0xfffd
	v_dual_cndmask_b32 v11, v13, v11 :: v_dual_and_b32 v12, 7, v9
	v_cmp_ne_u32_e32 vcc_lo, 0, v3
	v_lshrrev_b32_e32 v9, 2, v9
	s_delay_alu instid0(VALU_DEP_3) | instskip(NEXT) | instid1(VALU_DEP_4)
	v_cmp_eq_u32_e64 s0, 3, v12
	v_and_b32_e32 v13, 7, v11
	s_wait_alu 0xfffd
	v_cndmask_b32_e64 v3, 0, 1, vcc_lo
	v_cmp_ne_u32_e32 vcc_lo, 0, v5
	v_lshrrev_b32_e32 v11, 2, v11
	v_cmp_lt_i32_e64 s1, 5, v13
	v_cmp_eq_u32_e64 s2, 3, v13
	s_wait_alu 0xfffd
	v_cndmask_b32_e64 v5, 0, 1, vcc_lo
	v_cmp_lt_i32_e32 vcc_lo, 5, v12
	v_lshl_or_b32 v3, v3, 9, 0x7c00
	s_delay_alu instid0(VALU_DEP_3)
	v_lshl_or_b32 v5, v5, 9, 0x7c00
	s_or_b32 vcc_lo, s0, vcc_lo
	s_wait_alu 0xfffe
	v_add_co_ci_u32_e32 v9, vcc_lo, 0, v9, vcc_lo
	s_or_b32 vcc_lo, s2, s1
	s_wait_alu 0xfffe
	v_add_co_ci_u32_e32 v11, vcc_lo, 0, v11, vcc_lo
	v_cmp_gt_i32_e32 vcc_lo, 31, v15
	s_wait_alu 0xfffd
	v_cndmask_b32_e32 v9, 0x7c00, v9, vcc_lo
	v_cmp_gt_i32_e32 vcc_lo, 31, v10
	s_wait_alu 0xfffd
	v_cndmask_b32_e32 v11, 0x7c00, v11, vcc_lo
	v_cmp_eq_u32_e32 vcc_lo, 0x40f, v15
	s_wait_alu 0xfffd
	v_cndmask_b32_e32 v9, v9, v3, vcc_lo
	v_cmp_eq_u32_e32 vcc_lo, 0x40f, v10
	v_mov_b32_e32 v3, v8
	s_delay_alu instid0(VALU_DEP_3) | instskip(SKIP_2) | instid1(VALU_DEP_3)
	v_and_or_b32 v8, 0x8000, v4, v9
	s_wait_alu 0xfffd
	v_cndmask_b32_e32 v5, v11, v5, vcc_lo
	v_mad_co_u64_u32 v[3:4], null, 0x22c, s5, v[3:4]
	s_delay_alu instid0(VALU_DEP_2) | instskip(NEXT) | instid1(VALU_DEP_2)
	v_and_or_b32 v4, 0x8000, v6, v5
	v_dual_mov_b32 v8, v3 :: v_dual_and_b32 v5, 0xffff, v8
	s_delay_alu instid0(VALU_DEP_1)
	v_lshl_or_b32 v3, v4, 16, v5
	global_store_b32 v[7:8], v3, off
	global_load_b32 v5, v2, s[12:13] offset:612
	ds_load_2addr_b32 v[3:4], v37 offset0:153 offset1:167
	s_wait_dscnt 0x0
	v_lshrrev_b32_e32 v6, 16, v3
	s_wait_loadcnt 0x0
	v_lshrrev_b32_e32 v7, 16, v5
	s_delay_alu instid0(VALU_DEP_1) | instskip(SKIP_1) | instid1(VALU_DEP_2)
	v_mul_f16_e32 v8, v6, v7
	v_mul_f16_e32 v7, v3, v7
	v_fmac_f16_e32 v8, v3, v5
	s_delay_alu instid0(VALU_DEP_2) | instskip(NEXT) | instid1(VALU_DEP_2)
	v_fma_f16 v3, v5, v6, -v7
	v_cvt_f32_f16_e32 v5, v8
	s_delay_alu instid0(VALU_DEP_2) | instskip(NEXT) | instid1(VALU_DEP_2)
	v_cvt_f32_f16_e32 v3, v3
	v_cvt_f64_f32_e32 v[5:6], v5
	s_delay_alu instid0(VALU_DEP_2) | instskip(NEXT) | instid1(VALU_DEP_2)
	v_cvt_f64_f32_e32 v[7:8], v3
	v_mul_f64_e32 v[5:6], s[8:9], v[5:6]
	s_delay_alu instid0(VALU_DEP_2) | instskip(NEXT) | instid1(VALU_DEP_2)
	v_mul_f64_e32 v[7:8], s[8:9], v[7:8]
	v_and_or_b32 v3, 0x1ff, v6, v5
	s_delay_alu instid0(VALU_DEP_2)
	v_and_or_b32 v7, 0x1ff, v8, v7
	v_lshrrev_b32_e32 v5, 8, v6
	v_bfe_u32 v9, v6, 20, 11
	v_lshrrev_b32_e32 v10, 8, v8
	v_cmp_ne_u32_e32 vcc_lo, 0, v3
	v_bfe_u32 v11, v8, 20, 11
	v_lshrrev_b32_e32 v6, 16, v6
	v_sub_nc_u32_e32 v12, 0x3f1, v9
	v_add_nc_u32_e32 v16, 0xfffffc10, v9
	s_wait_alu 0xfffd
	v_cndmask_b32_e64 v3, 0, 1, vcc_lo
	v_cmp_ne_u32_e32 vcc_lo, 0, v7
	v_lshrrev_b32_e32 v8, 16, v8
	s_delay_alu instid0(VALU_DEP_3) | instskip(SKIP_4) | instid1(VALU_DEP_3)
	v_and_or_b32 v3, 0xffe, v5, v3
	s_wait_alu 0xfffd
	v_cndmask_b32_e64 v7, 0, 1, vcc_lo
	v_sub_nc_u32_e32 v5, 0x3f1, v11
	v_add_nc_u32_e32 v11, 0xfffffc10, v11
	v_and_or_b32 v7, 0xffe, v10, v7
	v_med3_i32 v10, v12, 0, 13
	v_or_b32_e32 v12, 0x1000, v3
	v_med3_i32 v5, v5, 0, 13
	s_delay_alu instid0(VALU_DEP_4) | instskip(NEXT) | instid1(VALU_DEP_3)
	v_or_b32_e32 v13, 0x1000, v7
	v_lshrrev_b32_e32 v14, v10, v12
	s_delay_alu instid0(VALU_DEP_2) | instskip(NEXT) | instid1(VALU_DEP_2)
	v_lshrrev_b32_e32 v15, v5, v13
	v_lshlrev_b32_e32 v10, v10, v14
	s_delay_alu instid0(VALU_DEP_2) | instskip(NEXT) | instid1(VALU_DEP_2)
	v_lshlrev_b32_e32 v5, v5, v15
	v_cmp_ne_u32_e32 vcc_lo, v10, v12
	v_mad_co_u64_u32 v[9:10], null, 0x264, s4, v[0:1]
	s_wait_alu 0xfffd
	v_cndmask_b32_e64 v12, 0, 1, vcc_lo
	v_cmp_ne_u32_e32 vcc_lo, v5, v13
	v_lshl_or_b32 v13, v16, 12, v3
	s_delay_alu instid0(VALU_DEP_3) | instskip(SKIP_4) | instid1(VALU_DEP_3)
	v_or_b32_e32 v12, v14, v12
	s_wait_alu 0xfffd
	v_cndmask_b32_e64 v5, 0, 1, vcc_lo
	v_cmp_gt_i32_e32 vcc_lo, 1, v16
	v_lshl_or_b32 v14, v11, 12, v7
	v_or_b32_e32 v5, v15, v5
	s_wait_alu 0xfffd
	v_cndmask_b32_e32 v12, v13, v12, vcc_lo
	v_cmp_gt_i32_e32 vcc_lo, 1, v11
	s_delay_alu instid0(VALU_DEP_2)
	v_and_b32_e32 v13, 7, v12
	s_wait_alu 0xfffd
	v_cndmask_b32_e32 v5, v14, v5, vcc_lo
	v_cmp_ne_u32_e32 vcc_lo, 0, v3
	v_lshrrev_b32_e32 v12, 2, v12
	v_cmp_eq_u32_e64 s0, 3, v13
	s_delay_alu instid0(VALU_DEP_4)
	v_and_b32_e32 v14, 7, v5
	s_wait_alu 0xfffd
	v_cndmask_b32_e64 v3, 0, 1, vcc_lo
	v_cmp_ne_u32_e32 vcc_lo, 0, v7
	v_lshrrev_b32_e32 v5, 2, v5
	v_cmp_lt_i32_e64 s1, 5, v14
	v_cmp_eq_u32_e64 s2, 3, v14
	s_wait_alu 0xfffd
	v_cndmask_b32_e64 v7, 0, 1, vcc_lo
	v_cmp_lt_i32_e32 vcc_lo, 5, v13
	v_lshl_or_b32 v3, v3, 9, 0x7c00
	s_delay_alu instid0(VALU_DEP_3)
	v_lshl_or_b32 v7, v7, 9, 0x7c00
	s_or_b32 vcc_lo, s0, vcc_lo
	s_wait_alu 0xfffe
	v_add_co_ci_u32_e32 v12, vcc_lo, 0, v12, vcc_lo
	s_or_b32 vcc_lo, s2, s1
	s_wait_alu 0xfffe
	v_add_co_ci_u32_e32 v5, vcc_lo, 0, v5, vcc_lo
	v_cmp_gt_i32_e32 vcc_lo, 31, v16
	s_wait_alu 0xfffd
	v_cndmask_b32_e32 v12, 0x7c00, v12, vcc_lo
	v_cmp_gt_i32_e32 vcc_lo, 31, v11
	s_wait_alu 0xfffd
	v_cndmask_b32_e32 v5, 0x7c00, v5, vcc_lo
	v_cmp_eq_u32_e32 vcc_lo, 0x40f, v16
	s_wait_alu 0xfffd
	v_cndmask_b32_e32 v12, v12, v3, vcc_lo
	v_cmp_eq_u32_e32 vcc_lo, 0x40f, v11
	v_mov_b32_e32 v3, v10
	s_delay_alu instid0(VALU_DEP_3) | instskip(SKIP_2) | instid1(VALU_DEP_3)
	v_and_or_b32 v10, 0x8000, v6, v12
	s_wait_alu 0xfffd
	v_cndmask_b32_e32 v7, v5, v7, vcc_lo
	v_mad_co_u64_u32 v[5:6], null, 0x264, s5, v[3:4]
	s_delay_alu instid0(VALU_DEP_3) | instskip(NEXT) | instid1(VALU_DEP_3)
	v_and_b32_e32 v6, 0xffff, v10
	v_and_or_b32 v3, 0x8000, v8, v7
	s_delay_alu instid0(VALU_DEP_3) | instskip(NEXT) | instid1(VALU_DEP_2)
	v_mov_b32_e32 v10, v5
	v_lshl_or_b32 v3, v3, 16, v6
	v_lshrrev_b32_e32 v5, 16, v4
	global_store_b32 v[9:10], v3, off
	global_load_b32 v3, v2, s[12:13] offset:668
	s_wait_loadcnt 0x0
	v_lshrrev_b32_e32 v6, 16, v3
	s_delay_alu instid0(VALU_DEP_1) | instskip(SKIP_1) | instid1(VALU_DEP_2)
	v_mul_f16_e32 v7, v5, v6
	v_mul_f16_e32 v6, v4, v6
	v_fmac_f16_e32 v7, v4, v3
	s_delay_alu instid0(VALU_DEP_2) | instskip(NEXT) | instid1(VALU_DEP_2)
	v_fma_f16 v3, v3, v5, -v6
	v_cvt_f32_f16_e32 v4, v7
	s_delay_alu instid0(VALU_DEP_2) | instskip(NEXT) | instid1(VALU_DEP_2)
	v_cvt_f32_f16_e32 v5, v3
	v_cvt_f64_f32_e32 v[3:4], v4
	s_delay_alu instid0(VALU_DEP_2) | instskip(NEXT) | instid1(VALU_DEP_2)
	v_cvt_f64_f32_e32 v[5:6], v5
	v_mul_f64_e32 v[3:4], s[8:9], v[3:4]
	s_delay_alu instid0(VALU_DEP_2) | instskip(NEXT) | instid1(VALU_DEP_2)
	v_mul_f64_e32 v[5:6], s[8:9], v[5:6]
	v_and_or_b32 v3, 0x1ff, v4, v3
	s_delay_alu instid0(VALU_DEP_2)
	v_and_or_b32 v5, 0x1ff, v6, v5
	v_lshrrev_b32_e32 v7, 8, v4
	v_bfe_u32 v8, v4, 20, 11
	v_lshrrev_b32_e32 v9, 8, v6
	v_cmp_ne_u32_e32 vcc_lo, 0, v3
	v_bfe_u32 v10, v6, 20, 11
	v_lshrrev_b32_e32 v4, 16, v4
	v_sub_nc_u32_e32 v11, 0x3f1, v8
	v_add_nc_u32_e32 v15, 0xfffffc10, v8
	s_wait_alu 0xfffd
	v_cndmask_b32_e64 v3, 0, 1, vcc_lo
	v_cmp_ne_u32_e32 vcc_lo, 0, v5
	v_lshrrev_b32_e32 v6, 16, v6
	s_delay_alu instid0(VALU_DEP_3) | instskip(SKIP_4) | instid1(VALU_DEP_3)
	v_and_or_b32 v3, 0xffe, v7, v3
	s_wait_alu 0xfffd
	v_cndmask_b32_e64 v5, 0, 1, vcc_lo
	v_sub_nc_u32_e32 v7, 0x3f1, v10
	v_add_nc_u32_e32 v10, 0xfffffc10, v10
	v_and_or_b32 v5, 0xffe, v9, v5
	v_med3_i32 v9, v11, 0, 13
	v_or_b32_e32 v11, 0x1000, v3
	v_med3_i32 v7, v7, 0, 13
	s_delay_alu instid0(VALU_DEP_4) | instskip(NEXT) | instid1(VALU_DEP_3)
	v_or_b32_e32 v12, 0x1000, v5
	v_lshrrev_b32_e32 v13, v9, v11
	s_delay_alu instid0(VALU_DEP_2) | instskip(NEXT) | instid1(VALU_DEP_2)
	v_lshrrev_b32_e32 v14, v7, v12
	v_lshlrev_b32_e32 v9, v9, v13
	s_delay_alu instid0(VALU_DEP_2) | instskip(NEXT) | instid1(VALU_DEP_2)
	v_lshlrev_b32_e32 v7, v7, v14
	v_cmp_ne_u32_e32 vcc_lo, v9, v11
	s_wait_alu 0xfffd
	v_cndmask_b32_e64 v9, 0, 1, vcc_lo
	s_delay_alu instid0(VALU_DEP_3) | instskip(SKIP_2) | instid1(VALU_DEP_4)
	v_cmp_ne_u32_e32 vcc_lo, v7, v12
	v_lshl_or_b32 v12, v15, 12, v3
	v_mad_co_u64_u32 v[7:8], null, 0x29c, s4, v[0:1]
	v_or_b32_e32 v9, v13, v9
	s_wait_alu 0xfffd
	v_cndmask_b32_e64 v11, 0, 1, vcc_lo
	v_cmp_gt_i32_e32 vcc_lo, 1, v15
	v_lshl_or_b32 v13, v10, 12, v5
	v_mad_co_u64_u32 v[0:1], null, 0x2d4, s4, v[0:1]
	s_delay_alu instid0(VALU_DEP_4) | instskip(SKIP_4) | instid1(VALU_DEP_2)
	v_or_b32_e32 v11, v14, v11
	s_wait_alu 0xfffd
	v_cndmask_b32_e32 v9, v12, v9, vcc_lo
	v_cmp_gt_i32_e32 vcc_lo, 1, v10
	s_wait_alu 0xfffd
	v_dual_cndmask_b32 v11, v13, v11 :: v_dual_and_b32 v12, 7, v9
	v_cmp_ne_u32_e32 vcc_lo, 0, v3
	v_lshrrev_b32_e32 v9, 2, v9
	s_delay_alu instid0(VALU_DEP_3) | instskip(NEXT) | instid1(VALU_DEP_4)
	v_cmp_eq_u32_e64 s0, 3, v12
	v_and_b32_e32 v13, 7, v11
	s_wait_alu 0xfffd
	v_cndmask_b32_e64 v3, 0, 1, vcc_lo
	v_cmp_ne_u32_e32 vcc_lo, 0, v5
	v_lshrrev_b32_e32 v11, 2, v11
	v_cmp_lt_i32_e64 s1, 5, v13
	v_cmp_eq_u32_e64 s2, 3, v13
	s_wait_alu 0xfffd
	v_cndmask_b32_e64 v5, 0, 1, vcc_lo
	v_cmp_lt_i32_e32 vcc_lo, 5, v12
	v_lshl_or_b32 v3, v3, 9, 0x7c00
	s_delay_alu instid0(VALU_DEP_3)
	v_lshl_or_b32 v5, v5, 9, 0x7c00
	s_or_b32 vcc_lo, s0, vcc_lo
	s_wait_alu 0xfffe
	v_add_co_ci_u32_e32 v9, vcc_lo, 0, v9, vcc_lo
	s_or_b32 vcc_lo, s2, s1
	s_wait_alu 0xfffe
	v_add_co_ci_u32_e32 v11, vcc_lo, 0, v11, vcc_lo
	v_cmp_gt_i32_e32 vcc_lo, 31, v15
	s_wait_alu 0xfffd
	v_cndmask_b32_e32 v9, 0x7c00, v9, vcc_lo
	v_cmp_gt_i32_e32 vcc_lo, 31, v10
	s_wait_alu 0xfffd
	v_cndmask_b32_e32 v11, 0x7c00, v11, vcc_lo
	v_cmp_eq_u32_e32 vcc_lo, 0x40f, v15
	s_wait_alu 0xfffd
	v_cndmask_b32_e32 v9, v9, v3, vcc_lo
	v_cmp_eq_u32_e32 vcc_lo, 0x40f, v10
	v_mov_b32_e32 v3, v8
	s_delay_alu instid0(VALU_DEP_3) | instskip(SKIP_2) | instid1(VALU_DEP_3)
	v_and_or_b32 v8, 0x8000, v4, v9
	s_wait_alu 0xfffd
	v_cndmask_b32_e32 v5, v11, v5, vcc_lo
	v_mad_co_u64_u32 v[3:4], null, 0x29c, s5, v[3:4]
	s_delay_alu instid0(VALU_DEP_2) | instskip(NEXT) | instid1(VALU_DEP_2)
	v_and_or_b32 v4, 0x8000, v6, v5
	v_dual_mov_b32 v8, v3 :: v_dual_and_b32 v5, 0xffff, v8
	s_delay_alu instid0(VALU_DEP_1)
	v_lshl_or_b32 v3, v4, 16, v5
	global_store_b32 v[7:8], v3, off
	global_load_b32 v2, v2, s[12:13] offset:724
	ds_load_b32 v3, v37 offset:724
	s_wait_dscnt 0x0
	v_lshrrev_b32_e32 v4, 16, v3
	s_wait_loadcnt 0x0
	v_lshrrev_b32_e32 v5, 16, v2
	s_delay_alu instid0(VALU_DEP_1) | instskip(SKIP_1) | instid1(VALU_DEP_2)
	v_mul_f16_e32 v6, v4, v5
	v_mul_f16_e32 v5, v3, v5
	v_fmac_f16_e32 v6, v3, v2
	s_delay_alu instid0(VALU_DEP_2) | instskip(NEXT) | instid1(VALU_DEP_2)
	v_fma_f16 v2, v2, v4, -v5
	v_cvt_f32_f16_e32 v3, v6
	s_delay_alu instid0(VALU_DEP_2) | instskip(NEXT) | instid1(VALU_DEP_2)
	v_cvt_f32_f16_e32 v4, v2
	v_cvt_f64_f32_e32 v[2:3], v3
	s_delay_alu instid0(VALU_DEP_2) | instskip(NEXT) | instid1(VALU_DEP_2)
	v_cvt_f64_f32_e32 v[4:5], v4
	v_mul_f64_e32 v[2:3], s[8:9], v[2:3]
	s_delay_alu instid0(VALU_DEP_2) | instskip(NEXT) | instid1(VALU_DEP_2)
	v_mul_f64_e32 v[4:5], s[8:9], v[4:5]
	v_and_or_b32 v2, 0x1ff, v3, v2
	s_delay_alu instid0(VALU_DEP_2)
	v_and_or_b32 v4, 0x1ff, v5, v4
	v_lshrrev_b32_e32 v6, 8, v3
	v_bfe_u32 v7, v3, 20, 11
	v_lshrrev_b32_e32 v8, 8, v5
	v_cmp_ne_u32_e32 vcc_lo, 0, v2
	v_bfe_u32 v9, v5, 20, 11
	v_lshrrev_b32_e32 v3, 16, v3
	v_sub_nc_u32_e32 v10, 0x3f1, v7
	v_add_nc_u32_e32 v7, 0xfffffc10, v7
	s_wait_alu 0xfffd
	v_cndmask_b32_e64 v2, 0, 1, vcc_lo
	v_cmp_ne_u32_e32 vcc_lo, 0, v4
	v_lshrrev_b32_e32 v5, 16, v5
	s_delay_alu instid0(VALU_DEP_3) | instskip(SKIP_4) | instid1(VALU_DEP_3)
	v_and_or_b32 v2, 0xffe, v6, v2
	s_wait_alu 0xfffd
	v_cndmask_b32_e64 v4, 0, 1, vcc_lo
	v_sub_nc_u32_e32 v6, 0x3f1, v9
	v_add_nc_u32_e32 v9, 0xfffffc10, v9
	v_and_or_b32 v4, 0xffe, v8, v4
	v_med3_i32 v8, v10, 0, 13
	v_or_b32_e32 v10, 0x1000, v2
	v_med3_i32 v6, v6, 0, 13
	s_delay_alu instid0(VALU_DEP_4) | instskip(NEXT) | instid1(VALU_DEP_3)
	v_or_b32_e32 v11, 0x1000, v4
	v_lshrrev_b32_e32 v12, v8, v10
	s_delay_alu instid0(VALU_DEP_2) | instskip(NEXT) | instid1(VALU_DEP_2)
	v_lshrrev_b32_e32 v13, v6, v11
	v_lshlrev_b32_e32 v8, v8, v12
	s_delay_alu instid0(VALU_DEP_2) | instskip(NEXT) | instid1(VALU_DEP_2)
	v_lshlrev_b32_e32 v6, v6, v13
	v_cmp_ne_u32_e32 vcc_lo, v8, v10
	v_lshl_or_b32 v10, v7, 12, v2
	s_wait_alu 0xfffd
	v_cndmask_b32_e64 v8, 0, 1, vcc_lo
	v_cmp_ne_u32_e32 vcc_lo, v6, v11
	v_lshl_or_b32 v11, v9, 12, v4
	s_delay_alu instid0(VALU_DEP_3) | instskip(SKIP_3) | instid1(VALU_DEP_2)
	v_or_b32_e32 v8, v12, v8
	s_wait_alu 0xfffd
	v_cndmask_b32_e64 v6, 0, 1, vcc_lo
	v_cmp_gt_i32_e32 vcc_lo, 1, v7
	v_or_b32_e32 v6, v13, v6
	s_wait_alu 0xfffd
	v_cndmask_b32_e32 v8, v10, v8, vcc_lo
	v_cmp_gt_i32_e32 vcc_lo, 1, v9
	s_delay_alu instid0(VALU_DEP_2)
	v_and_b32_e32 v10, 7, v8
	s_wait_alu 0xfffd
	v_cndmask_b32_e32 v6, v11, v6, vcc_lo
	v_cmp_ne_u32_e32 vcc_lo, 0, v2
	v_lshrrev_b32_e32 v8, 2, v8
	v_cmp_eq_u32_e64 s0, 3, v10
	s_delay_alu instid0(VALU_DEP_4)
	v_and_b32_e32 v11, 7, v6
	s_wait_alu 0xfffd
	v_cndmask_b32_e64 v2, 0, 1, vcc_lo
	v_cmp_ne_u32_e32 vcc_lo, 0, v4
	v_lshrrev_b32_e32 v6, 2, v6
	v_cmp_lt_i32_e64 s1, 5, v11
	v_cmp_eq_u32_e64 s2, 3, v11
	s_wait_alu 0xfffd
	v_cndmask_b32_e64 v4, 0, 1, vcc_lo
	v_cmp_lt_i32_e32 vcc_lo, 5, v10
	v_lshl_or_b32 v2, v2, 9, 0x7c00
	s_delay_alu instid0(VALU_DEP_3)
	v_lshl_or_b32 v4, v4, 9, 0x7c00
	s_or_b32 vcc_lo, s0, vcc_lo
	s_wait_alu 0xfffe
	v_add_co_ci_u32_e32 v8, vcc_lo, 0, v8, vcc_lo
	s_or_b32 vcc_lo, s2, s1
	s_wait_alu 0xfffe
	v_add_co_ci_u32_e32 v6, vcc_lo, 0, v6, vcc_lo
	v_cmp_gt_i32_e32 vcc_lo, 31, v7
	s_wait_alu 0xfffd
	v_cndmask_b32_e32 v8, 0x7c00, v8, vcc_lo
	v_cmp_gt_i32_e32 vcc_lo, 31, v9
	s_wait_alu 0xfffd
	v_cndmask_b32_e32 v6, 0x7c00, v6, vcc_lo
	v_cmp_eq_u32_e32 vcc_lo, 0x40f, v7
	s_wait_alu 0xfffd
	v_cndmask_b32_e32 v2, v8, v2, vcc_lo
	v_cmp_eq_u32_e32 vcc_lo, 0x40f, v9
	s_delay_alu instid0(VALU_DEP_2) | instskip(SKIP_3) | instid1(VALU_DEP_3)
	v_and_or_b32 v3, 0x8000, v3, v2
	s_wait_alu 0xfffd
	v_cndmask_b32_e32 v4, v6, v4, vcc_lo
                                        ; kill: def $vgpr2 killed $sgpr0 killed $exec
	v_mad_co_u64_u32 v[1:2], null, 0x2d4, s5, v[1:2]
	v_and_b32_e32 v3, 0xffff, v3
	s_delay_alu instid0(VALU_DEP_3) | instskip(NEXT) | instid1(VALU_DEP_1)
	v_and_or_b32 v2, 0x8000, v5, v4
	v_lshl_or_b32 v2, v2, 16, v3
	global_store_b32 v[0:1], v2, off
.LBB0_15:
	s_nop 0
	s_sendmsg sendmsg(MSG_DEALLOC_VGPRS)
	s_endpgm
	.section	.rodata,"a",@progbits
	.p2align	6, 0x0
	.amdhsa_kernel bluestein_single_back_len182_dim1_half_op_CI_CI
		.amdhsa_group_segment_fixed_size 2912
		.amdhsa_private_segment_fixed_size 0
		.amdhsa_kernarg_size 104
		.amdhsa_user_sgpr_count 2
		.amdhsa_user_sgpr_dispatch_ptr 0
		.amdhsa_user_sgpr_queue_ptr 0
		.amdhsa_user_sgpr_kernarg_segment_ptr 1
		.amdhsa_user_sgpr_dispatch_id 0
		.amdhsa_user_sgpr_private_segment_size 0
		.amdhsa_wavefront_size32 1
		.amdhsa_uses_dynamic_stack 0
		.amdhsa_enable_private_segment 0
		.amdhsa_system_sgpr_workgroup_id_x 1
		.amdhsa_system_sgpr_workgroup_id_y 0
		.amdhsa_system_sgpr_workgroup_id_z 0
		.amdhsa_system_sgpr_workgroup_info 0
		.amdhsa_system_vgpr_workitem_id 0
		.amdhsa_next_free_vgpr 197
		.amdhsa_next_free_sgpr 16
		.amdhsa_reserve_vcc 1
		.amdhsa_float_round_mode_32 0
		.amdhsa_float_round_mode_16_64 0
		.amdhsa_float_denorm_mode_32 3
		.amdhsa_float_denorm_mode_16_64 3
		.amdhsa_fp16_overflow 0
		.amdhsa_workgroup_processor_mode 1
		.amdhsa_memory_ordered 1
		.amdhsa_forward_progress 0
		.amdhsa_round_robin_scheduling 0
		.amdhsa_exception_fp_ieee_invalid_op 0
		.amdhsa_exception_fp_denorm_src 0
		.amdhsa_exception_fp_ieee_div_zero 0
		.amdhsa_exception_fp_ieee_overflow 0
		.amdhsa_exception_fp_ieee_underflow 0
		.amdhsa_exception_fp_ieee_inexact 0
		.amdhsa_exception_int_div_zero 0
	.end_amdhsa_kernel
	.text
.Lfunc_end0:
	.size	bluestein_single_back_len182_dim1_half_op_CI_CI, .Lfunc_end0-bluestein_single_back_len182_dim1_half_op_CI_CI
                                        ; -- End function
	.section	.AMDGPU.csdata,"",@progbits
; Kernel info:
; codeLenInByte = 42644
; NumSgprs: 18
; NumVgprs: 197
; ScratchSize: 0
; MemoryBound: 0
; FloatMode: 240
; IeeeMode: 1
; LDSByteSize: 2912 bytes/workgroup (compile time only)
; SGPRBlocks: 2
; VGPRBlocks: 24
; NumSGPRsForWavesPerEU: 18
; NumVGPRsForWavesPerEU: 197
; Occupancy: 7
; WaveLimiterHint : 1
; COMPUTE_PGM_RSRC2:SCRATCH_EN: 0
; COMPUTE_PGM_RSRC2:USER_SGPR: 2
; COMPUTE_PGM_RSRC2:TRAP_HANDLER: 0
; COMPUTE_PGM_RSRC2:TGID_X_EN: 1
; COMPUTE_PGM_RSRC2:TGID_Y_EN: 0
; COMPUTE_PGM_RSRC2:TGID_Z_EN: 0
; COMPUTE_PGM_RSRC2:TIDIG_COMP_CNT: 0
	.text
	.p2alignl 7, 3214868480
	.fill 96, 4, 3214868480
	.type	__hip_cuid_61c98056318ea7b4,@object ; @__hip_cuid_61c98056318ea7b4
	.section	.bss,"aw",@nobits
	.globl	__hip_cuid_61c98056318ea7b4
__hip_cuid_61c98056318ea7b4:
	.byte	0                               ; 0x0
	.size	__hip_cuid_61c98056318ea7b4, 1

	.ident	"AMD clang version 19.0.0git (https://github.com/RadeonOpenCompute/llvm-project roc-6.4.0 25133 c7fe45cf4b819c5991fe208aaa96edf142730f1d)"
	.section	".note.GNU-stack","",@progbits
	.addrsig
	.addrsig_sym __hip_cuid_61c98056318ea7b4
	.amdgpu_metadata
---
amdhsa.kernels:
  - .args:
      - .actual_access:  read_only
        .address_space:  global
        .offset:         0
        .size:           8
        .value_kind:     global_buffer
      - .actual_access:  read_only
        .address_space:  global
        .offset:         8
        .size:           8
        .value_kind:     global_buffer
      - .actual_access:  read_only
        .address_space:  global
        .offset:         16
        .size:           8
        .value_kind:     global_buffer
      - .actual_access:  read_only
        .address_space:  global
        .offset:         24
        .size:           8
        .value_kind:     global_buffer
      - .actual_access:  read_only
        .address_space:  global
        .offset:         32
        .size:           8
        .value_kind:     global_buffer
      - .offset:         40
        .size:           8
        .value_kind:     by_value
      - .address_space:  global
        .offset:         48
        .size:           8
        .value_kind:     global_buffer
      - .address_space:  global
        .offset:         56
        .size:           8
        .value_kind:     global_buffer
      - .address_space:  global
        .offset:         64
        .size:           8
        .value_kind:     global_buffer
      - .address_space:  global
        .offset:         72
        .size:           8
        .value_kind:     global_buffer
      - .offset:         80
        .size:           4
        .value_kind:     by_value
      - .address_space:  global
        .offset:         88
        .size:           8
        .value_kind:     global_buffer
      - .address_space:  global
        .offset:         96
        .size:           8
        .value_kind:     global_buffer
    .group_segment_fixed_size: 2912
    .kernarg_segment_align: 8
    .kernarg_segment_size: 104
    .language:       OpenCL C
    .language_version:
      - 2
      - 0
    .max_flat_workgroup_size: 52
    .name:           bluestein_single_back_len182_dim1_half_op_CI_CI
    .private_segment_fixed_size: 0
    .sgpr_count:     18
    .sgpr_spill_count: 0
    .symbol:         bluestein_single_back_len182_dim1_half_op_CI_CI.kd
    .uniform_work_group_size: 1
    .uses_dynamic_stack: false
    .vgpr_count:     197
    .vgpr_spill_count: 0
    .wavefront_size: 32
    .workgroup_processor_mode: 1
amdhsa.target:   amdgcn-amd-amdhsa--gfx1201
amdhsa.version:
  - 1
  - 2
...

	.end_amdgpu_metadata
